;; amdgpu-corpus repo=ROCm/rocFFT kind=compiled arch=gfx906 opt=O3
	.text
	.amdgcn_target "amdgcn-amd-amdhsa--gfx906"
	.amdhsa_code_object_version 6
	.protected	bluestein_single_back_len363_dim1_dp_op_CI_CI ; -- Begin function bluestein_single_back_len363_dim1_dp_op_CI_CI
	.globl	bluestein_single_back_len363_dim1_dp_op_CI_CI
	.p2align	8
	.type	bluestein_single_back_len363_dim1_dp_op_CI_CI,@function
bluestein_single_back_len363_dim1_dp_op_CI_CI: ; @bluestein_single_back_len363_dim1_dp_op_CI_CI
; %bb.0:
	v_mul_u32_u24_e32 v1, 0x7c2, v0
	s_load_dwordx4 s[8:11], s[4:5], 0x28
	v_lshrrev_b32_e32 v1, 16, v1
	v_mad_u64_u32 v[164:165], s[0:1], s6, 3, v[1:2]
	v_mov_b32_e32 v165, 0
	s_waitcnt lgkmcnt(0)
	v_cmp_gt_u64_e32 vcc, s[8:9], v[164:165]
	s_and_saveexec_b64 s[0:1], vcc
	s_cbranch_execz .LBB0_10
; %bb.1:
	s_load_dwordx4 s[0:3], s[4:5], 0x18
	s_load_dwordx4 s[12:15], s[4:5], 0x0
	v_mul_lo_u16_e32 v1, 33, v1
	v_sub_u16_e32 v165, v0, v1
	v_lshlrev_b32_e32 v100, 4, v165
	s_waitcnt lgkmcnt(0)
	s_load_dwordx4 s[16:19], s[0:1], 0x0
	s_movk_i32 s8, 0x1000
	s_mov_b32 s24, 0xf8bb580b
	s_mov_b32 s20, 0x43842ef
	s_mov_b32 s22, 0xbb3a28a1
	s_waitcnt lgkmcnt(0)
	v_mad_u64_u32 v[0:1], s[0:1], s18, v164, 0
	v_mad_u64_u32 v[2:3], s[0:1], s16, v165, 0
	s_mul_i32 s6, s17, 0x210
	s_mul_hi_u32 s7, s16, 0x210
	v_mad_u64_u32 v[4:5], s[0:1], s19, v164, v[1:2]
	s_add_i32 s6, s7, s6
	s_mul_i32 s7, s16, 0x210
	v_mad_u64_u32 v[5:6], s[0:1], s17, v165, v[3:4]
	v_mov_b32_e32 v1, v4
	v_lshlrev_b64 v[0:1], 4, v[0:1]
	v_mov_b32_e32 v3, v5
	v_mov_b32_e32 v6, s11
	v_lshlrev_b64 v[2:3], 4, v[2:3]
	v_add_co_u32_e32 v0, vcc, s10, v0
	v_addc_co_u32_e32 v1, vcc, v6, v1, vcc
	v_add_co_u32_e32 v0, vcc, v0, v2
	v_mov_b32_e32 v2, s13
	v_add_co_u32_e64 v124, s[0:1], s12, v100
	v_addc_co_u32_e32 v1, vcc, v1, v3, vcc
	v_addc_co_u32_e64 v16, vcc, 0, v2, s[0:1]
	global_load_dwordx4 v[44:47], v[0:1], off
	v_mov_b32_e32 v2, s6
	v_add_co_u32_e32 v0, vcc, s7, v0
	v_addc_co_u32_e32 v1, vcc, v1, v2, vcc
	global_load_dwordx4 v[40:43], v100, s[12:13]
	global_load_dwordx4 v[20:23], v100, s[12:13] offset:528
	v_mov_b32_e32 v3, s6
	v_add_co_u32_e32 v2, vcc, s7, v0
	v_addc_co_u32_e32 v3, vcc, v1, v3, vcc
	global_load_dwordx4 v[48:51], v[0:1], off
	global_load_dwordx4 v[52:55], v[2:3], off
	global_load_dwordx4 v[32:35], v100, s[12:13] offset:1056
	global_load_dwordx4 v[12:15], v100, s[12:13] offset:1584
	v_mov_b32_e32 v1, s6
	v_add_co_u32_e32 v0, vcc, s7, v2
	v_addc_co_u32_e32 v1, vcc, v3, v1, vcc
	v_mov_b32_e32 v3, s6
	v_add_co_u32_e32 v2, vcc, s7, v0
	v_addc_co_u32_e32 v3, vcc, v1, v3, vcc
	global_load_dwordx4 v[56:59], v[0:1], off
	global_load_dwordx4 v[60:63], v[2:3], off
	v_mov_b32_e32 v1, s6
	v_add_co_u32_e32 v0, vcc, s7, v2
	v_addc_co_u32_e32 v1, vcc, v3, v1, vcc
	global_load_dwordx4 v[64:67], v[0:1], off
	global_load_dwordx4 v[36:39], v100, s[12:13] offset:2112
	global_load_dwordx4 v[8:11], v100, s[12:13] offset:2640
	v_mov_b32_e32 v2, s6
	v_add_co_u32_e32 v0, vcc, s7, v0
	v_addc_co_u32_e32 v1, vcc, v1, v2, vcc
	global_load_dwordx4 v[68:71], v[0:1], off
	v_add_co_u32_e32 v0, vcc, s7, v0
	v_addc_co_u32_e32 v1, vcc, v1, v2, vcc
	global_load_dwordx4 v[72:75], v[0:1], off
	global_load_dwordx4 v[24:27], v100, s[12:13] offset:3168
	global_load_dwordx4 v[4:7], v100, s[12:13] offset:3696
	v_add_co_u32_e32 v0, vcc, s7, v0
	v_addc_co_u32_e32 v1, vcc, v1, v2, vcc
	v_add_co_u32_e32 v88, vcc, s8, v124
	v_addc_co_u32_e32 v89, vcc, 0, v16, vcc
	;; [unrolled: 2-line block ×3, first 2 shown]
	global_load_dwordx4 v[76:79], v[0:1], off
	v_mov_b32_e32 v18, s6
	v_add_co_u32_e32 v90, vcc, s7, v16
	global_load_dwordx4 v[80:83], v[16:17], off
	global_load_dwordx4 v[28:31], v[88:89], off offset:128
	global_load_dwordx4 v[0:3], v[88:89], off offset:656
	v_addc_co_u32_e32 v91, vcc, v17, v18, vcc
	global_load_dwordx4 v[84:87], v[90:91], off
	global_load_dwordx4 v[16:19], v[88:89], off offset:1184
	s_mov_b32 s6, 0xaaaaaaab
	v_mul_hi_u32 v101, v164, s6
	s_load_dwordx4 s[8:11], s[2:3], 0x0
	s_mov_b32 s17, 0xbfed1bb4
	s_mov_b32 s16, 0x8eee2c13
	v_lshrrev_b32_e32 v101, 1, v101
	s_mov_b32 s18, 0xd9c712b6
	s_mov_b32 s30, 0xfd768dbf
	;; [unrolled: 1-line block ×17, first 2 shown]
	s_waitcnt vmcnt(20)
	v_mul_f64 v[88:89], v[46:47], v[42:43]
	v_mul_f64 v[90:91], v[44:45], v[42:43]
	s_mov_b32 s37, 0x3fefac9e
	s_mov_b32 s36, s20
	;; [unrolled: 1-line block ×4, first 2 shown]
	s_waitcnt vmcnt(18)
	v_mul_f64 v[92:93], v[50:51], v[22:23]
	v_mul_f64 v[94:95], v[48:49], v[22:23]
	s_waitcnt vmcnt(16)
	v_mul_f64 v[96:97], v[54:55], v[34:35]
	v_mul_f64 v[98:99], v[52:53], v[34:35]
	v_fma_f64 v[44:45], v[44:45], v[40:41], v[88:89]
	v_fma_f64 v[46:47], v[46:47], v[40:41], -v[90:91]
	v_lshl_add_u32 v88, v101, 1, v101
	v_sub_u32_e32 v88, v164, v88
	v_fma_f64 v[48:49], v[48:49], v[20:21], v[92:93]
	v_fma_f64 v[50:51], v[50:51], v[20:21], -v[94:95]
	v_fma_f64 v[52:53], v[52:53], v[32:33], v[96:97]
	v_fma_f64 v[54:55], v[54:55], v[32:33], -v[98:99]
	v_mul_u32_u24_e32 v88, 0x16b, v88
	v_lshlrev_b32_e32 v167, 4, v88
	v_add_u32_e32 v166, v100, v167
	ds_write_b128 v166, v[44:47]
	ds_write_b128 v166, v[48:51] offset:528
	ds_write_b128 v166, v[52:55] offset:1056
	s_waitcnt vmcnt(11)
	v_mul_f64 v[48:49], v[62:63], v[38:39]
	v_mul_f64 v[50:51], v[60:61], v[38:39]
	s_waitcnt vmcnt(10)
	v_mul_f64 v[52:53], v[66:67], v[10:11]
	v_mul_f64 v[54:55], v[64:65], v[10:11]
	v_mul_f64 v[44:45], v[58:59], v[14:15]
	v_mul_f64 v[46:47], v[56:57], v[14:15]
	v_cmp_gt_u16_e32 vcc, 22, v165
	v_fma_f64 v[48:49], v[60:61], v[36:37], v[48:49]
	v_fma_f64 v[50:51], v[62:63], v[36:37], -v[50:51]
	v_fma_f64 v[52:53], v[64:65], v[8:9], v[52:53]
	s_waitcnt vmcnt(7)
	v_mul_f64 v[88:89], v[70:71], v[26:27]
	v_mul_f64 v[90:91], v[68:69], v[26:27]
	s_waitcnt vmcnt(6)
	v_mul_f64 v[60:61], v[74:75], v[6:7]
	v_mul_f64 v[62:63], v[72:73], v[6:7]
	v_fma_f64 v[54:55], v[66:67], v[8:9], -v[54:55]
	v_fma_f64 v[44:45], v[56:57], v[12:13], v[44:45]
	v_fma_f64 v[46:47], v[58:59], v[12:13], -v[46:47]
	v_fma_f64 v[56:57], v[68:69], v[24:25], v[88:89]
	;; [unrolled: 2-line block ×3, first 2 shown]
	v_fma_f64 v[62:63], v[74:75], v[4:5], -v[62:63]
	s_waitcnt vmcnt(3)
	v_mul_f64 v[64:65], v[78:79], v[30:31]
	v_mul_f64 v[66:67], v[76:77], v[30:31]
	s_waitcnt vmcnt(2)
	v_mul_f64 v[68:69], v[82:83], v[2:3]
	v_mul_f64 v[70:71], v[80:81], v[2:3]
	;; [unrolled: 3-line block ×3, first 2 shown]
	v_fma_f64 v[64:65], v[76:77], v[28:29], v[64:65]
	v_fma_f64 v[66:67], v[78:79], v[28:29], -v[66:67]
	v_fma_f64 v[68:69], v[80:81], v[0:1], v[68:69]
	v_fma_f64 v[70:71], v[82:83], v[0:1], -v[70:71]
	;; [unrolled: 2-line block ×3, first 2 shown]
	ds_write_b128 v166, v[44:47] offset:1584
	ds_write_b128 v166, v[48:51] offset:2112
	;; [unrolled: 1-line block ×8, first 2 shown]
	s_waitcnt lgkmcnt(0)
	s_barrier
	ds_read_b128 v[48:51], v166
	ds_read_b128 v[52:55], v166 offset:528
	ds_read_b128 v[56:59], v166 offset:1056
	;; [unrolled: 1-line block ×9, first 2 shown]
	s_waitcnt lgkmcnt(8)
	v_add_f64 v[44:45], v[48:49], v[52:53]
	v_add_f64 v[46:47], v[50:51], v[54:55]
	ds_read_b128 v[88:91], v166 offset:5280
	s_waitcnt lgkmcnt(0)
	v_add_f64 v[108:109], v[56:57], v[60:61]
	v_add_f64 v[110:111], v[58:59], v[62:63]
	v_add_f64 v[112:113], v[56:57], -v[60:61]
	v_add_f64 v[92:93], v[54:55], -v[90:91]
	v_add_f64 v[44:45], v[44:45], v[56:57]
	v_add_f64 v[46:47], v[46:47], v[58:59]
	;; [unrolled: 1-line block ×3, first 2 shown]
	v_add_f64 v[114:115], v[58:59], -v[62:63]
	v_add_f64 v[58:59], v[70:71], -v[82:83]
	;; [unrolled: 1-line block ×3, first 2 shown]
	v_mul_f64 v[127:128], v[112:113], s[16:17]
	v_mul_f64 v[96:97], v[92:93], s[24:25]
	v_add_f64 v[44:45], v[44:45], v[64:65]
	v_add_f64 v[46:47], v[46:47], v[66:67]
	v_mul_f64 v[100:101], v[92:93], s[20:21]
	v_mul_f64 v[106:107], v[92:93], s[22:23]
	;; [unrolled: 1-line block ×4, first 2 shown]
	s_barrier
	v_fma_f64 v[98:99], v[94:95], s[2:3], -v[96:97]
	v_add_f64 v[44:45], v[44:45], v[68:69]
	v_add_f64 v[46:47], v[46:47], v[70:71]
	v_fma_f64 v[96:97], v[94:95], s[2:3], v[96:97]
	v_fma_f64 v[135:136], v[108:109], s[28:29], -v[131:132]
	v_add_f64 v[44:45], v[44:45], v[72:73]
	v_add_f64 v[46:47], v[46:47], v[74:75]
	;; [unrolled: 1-line block ×12, first 2 shown]
	v_add_f64 v[66:67], v[66:67], -v[86:87]
	v_add_f64 v[62:63], v[64:65], v[84:85]
	v_add_f64 v[64:65], v[64:65], -v[84:85]
	v_fma_f64 v[84:85], v[94:95], s[26:27], v[106:107]
	v_add_f64 v[44:45], v[44:45], v[88:89]
	v_add_f64 v[88:89], v[52:53], -v[88:89]
	v_mul_f64 v[52:53], v[92:93], s[16:17]
	v_add_f64 v[46:47], v[46:47], v[90:91]
	v_add_f64 v[90:91], v[54:55], v[90:91]
	v_add_f64 v[54:55], v[68:69], v[80:81]
	v_add_f64 v[80:81], v[74:75], -v[78:79]
	v_add_f64 v[78:79], v[74:75], v[78:79]
	v_fma_f64 v[68:69], v[94:95], s[6:7], -v[100:101]
	v_mul_f64 v[86:87], v[88:89], s[24:25]
	v_fma_f64 v[102:103], v[94:95], s[18:19], -v[52:53]
	v_fma_f64 v[104:105], v[94:95], s[18:19], v[52:53]
	v_add_f64 v[52:53], v[70:71], v[82:83]
	v_mul_f64 v[70:71], v[92:93], s[30:31]
	v_mul_f64 v[92:93], v[88:89], s[16:17]
	v_add_f64 v[82:83], v[72:73], -v[76:77]
	v_add_f64 v[76:77], v[72:73], v[76:77]
	v_fma_f64 v[72:73], v[94:95], s[6:7], v[100:101]
	v_fma_f64 v[74:75], v[94:95], s[26:27], -v[106:107]
	v_mul_f64 v[106:107], v[88:89], s[20:21]
	v_fma_f64 v[116:117], v[90:91], s[2:3], v[86:87]
	v_fma_f64 v[100:101], v[94:95], s[28:29], -v[70:71]
	v_fma_f64 v[70:71], v[94:95], s[28:29], v[70:71]
	v_mul_f64 v[94:95], v[88:89], s[22:23]
	v_mul_f64 v[88:89], v[88:89], s[30:31]
	v_fma_f64 v[118:119], v[90:91], s[18:19], v[92:93]
	v_fma_f64 v[86:87], v[90:91], s[2:3], -v[86:87]
	v_fma_f64 v[92:93], v[90:91], s[18:19], -v[92:93]
	v_fma_f64 v[120:121], v[90:91], s[6:7], v[106:107]
	v_fma_f64 v[106:107], v[90:91], s[6:7], -v[106:107]
	v_add_f64 v[102:103], v[48:49], v[102:103]
	v_fma_f64 v[122:123], v[90:91], s[26:27], v[94:95]
	v_fma_f64 v[94:95], v[90:91], s[26:27], -v[94:95]
	v_fma_f64 v[125:126], v[90:91], s[28:29], v[88:89]
	v_fma_f64 v[88:89], v[90:91], s[28:29], -v[88:89]
	v_add_f64 v[90:91], v[48:49], v[98:99]
	v_add_f64 v[98:99], v[50:51], v[116:117]
	;; [unrolled: 1-line block ×3, first 2 shown]
	v_mul_f64 v[118:119], v[114:115], s[16:17]
	v_add_f64 v[86:87], v[50:51], v[86:87]
	v_add_f64 v[104:105], v[48:49], v[104:105]
	;; [unrolled: 1-line block ×7, first 2 shown]
	v_fma_f64 v[129:130], v[108:109], s[18:19], -v[118:119]
	v_add_f64 v[74:75], v[48:49], v[74:75]
	v_add_f64 v[122:123], v[50:51], v[122:123]
	;; [unrolled: 1-line block ×7, first 2 shown]
	v_fma_f64 v[70:71], v[110:111], s[18:19], v[127:128]
	v_add_f64 v[50:51], v[50:51], v[88:89]
	v_add_f64 v[88:89], v[129:130], v[90:91]
	v_mul_f64 v[90:91], v[114:115], s[22:23]
	v_mul_f64 v[129:130], v[112:113], s[22:23]
	s_mov_b32 s17, 0x3fed1bb4
	v_add_f64 v[68:69], v[135:136], v[68:69]
	v_add_f64 v[70:71], v[70:71], v[98:99]
	v_fma_f64 v[98:99], v[108:109], s[18:19], v[118:119]
	v_fma_f64 v[118:119], v[110:111], s[18:19], -v[127:128]
	v_fma_f64 v[127:128], v[108:109], s[26:27], -v[90:91]
	v_fma_f64 v[133:134], v[110:111], s[26:27], v[129:130]
	v_fma_f64 v[90:91], v[108:109], s[26:27], v[90:91]
	v_fma_f64 v[129:130], v[110:111], s[26:27], -v[129:130]
	v_add_f64 v[96:97], v[98:99], v[96:97]
	v_add_f64 v[86:87], v[118:119], v[86:87]
	;; [unrolled: 1-line block ×5, first 2 shown]
	v_fma_f64 v[104:105], v[110:111], s[28:29], v[137:138]
	v_fma_f64 v[116:117], v[108:109], s[28:29], v[131:132]
	v_fma_f64 v[118:119], v[110:111], s[28:29], -v[137:138]
	v_mul_f64 v[127:128], v[114:115], s[36:37]
	v_mul_f64 v[114:115], v[114:115], s[34:35]
	v_add_f64 v[92:93], v[129:130], v[92:93]
	v_mul_f64 v[129:130], v[112:113], s[36:37]
	v_mul_f64 v[112:113], v[112:113], s[34:35]
	v_add_f64 v[104:105], v[104:105], v[120:121]
	v_add_f64 v[72:73], v[116:117], v[72:73]
	v_add_f64 v[106:107], v[118:119], v[106:107]
	v_fma_f64 v[116:117], v[108:109], s[6:7], -v[127:128]
	v_fma_f64 v[118:119], v[108:109], s[6:7], v[127:128]
	v_fma_f64 v[120:121], v[108:109], s[2:3], -v[114:115]
	v_fma_f64 v[108:109], v[108:109], s[2:3], v[114:115]
	v_mul_f64 v[114:115], v[66:67], s[20:21]
	v_mul_f64 v[133:134], v[64:65], s[20:21]
	v_fma_f64 v[127:128], v[110:111], s[6:7], v[129:130]
	v_fma_f64 v[129:130], v[110:111], s[6:7], -v[129:130]
	v_fma_f64 v[131:132], v[110:111], s[2:3], v[112:113]
	v_fma_f64 v[110:111], v[110:111], s[2:3], -v[112:113]
	v_add_f64 v[74:75], v[116:117], v[74:75]
	v_add_f64 v[84:85], v[118:119], v[84:85]
	v_fma_f64 v[116:117], v[62:63], s[6:7], -v[114:115]
	v_fma_f64 v[118:119], v[60:61], s[6:7], v[133:134]
	v_add_f64 v[48:49], v[108:109], v[48:49]
	v_mul_f64 v[108:109], v[66:67], s[38:39]
	v_add_f64 v[112:113], v[127:128], v[122:123]
	v_add_f64 v[100:101], v[120:121], v[100:101]
	;; [unrolled: 1-line block ×5, first 2 shown]
	v_mul_f64 v[110:111], v[64:65], s[38:39]
	v_fma_f64 v[114:115], v[62:63], s[6:7], v[114:115]
	v_add_f64 v[70:71], v[118:119], v[70:71]
	v_fma_f64 v[116:117], v[60:61], s[6:7], -v[133:134]
	v_mul_f64 v[118:119], v[66:67], s[16:17]
	v_fma_f64 v[122:123], v[62:63], s[28:29], -v[108:109]
	v_mul_f64 v[125:126], v[64:65], s[16:17]
	v_fma_f64 v[108:109], v[62:63], s[28:29], v[108:109]
	v_fma_f64 v[127:128], v[60:61], s[28:29], v[110:111]
	v_add_f64 v[96:97], v[114:115], v[96:97]
	v_fma_f64 v[110:111], v[60:61], s[28:29], -v[110:111]
	v_add_f64 v[86:87], v[116:117], v[86:87]
	v_fma_f64 v[114:115], v[62:63], s[18:19], -v[118:119]
	v_add_f64 v[98:99], v[122:123], v[98:99]
	v_fma_f64 v[116:117], v[60:61], s[18:19], v[125:126]
	v_mul_f64 v[122:123], v[66:67], s[24:25]
	v_add_f64 v[90:91], v[108:109], v[90:91]
	v_mul_f64 v[108:109], v[64:65], s[24:25]
	v_add_f64 v[92:93], v[110:111], v[92:93]
	v_fma_f64 v[110:111], v[62:63], s[18:19], v[118:119]
	v_add_f64 v[68:69], v[114:115], v[68:69]
	v_fma_f64 v[114:115], v[60:61], s[18:19], -v[125:126]
	v_add_f64 v[104:105], v[116:117], v[104:105]
	v_fma_f64 v[116:117], v[62:63], s[2:3], -v[122:123]
	v_mul_f64 v[66:67], v[66:67], s[22:23]
	v_mul_f64 v[64:65], v[64:65], s[22:23]
	v_add_f64 v[94:95], v[129:130], v[94:95]
	v_fma_f64 v[118:119], v[60:61], s[2:3], v[108:109]
	v_fma_f64 v[122:123], v[62:63], s[2:3], v[122:123]
	v_add_f64 v[72:73], v[110:111], v[72:73]
	v_fma_f64 v[108:109], v[60:61], s[2:3], -v[108:109]
	v_add_f64 v[106:107], v[114:115], v[106:107]
	v_add_f64 v[74:75], v[116:117], v[74:75]
	v_fma_f64 v[110:111], v[62:63], s[26:27], -v[66:67]
	v_fma_f64 v[114:115], v[60:61], s[26:27], v[64:65]
	v_mul_f64 v[116:117], v[58:59], s[22:23]
	v_fma_f64 v[62:63], v[62:63], s[26:27], v[66:67]
	v_fma_f64 v[60:61], v[60:61], s[26:27], -v[64:65]
	v_add_f64 v[94:95], v[108:109], v[94:95]
	v_mul_f64 v[108:109], v[56:57], s[22:23]
	v_add_f64 v[102:103], v[127:128], v[102:103]
	v_add_f64 v[66:67], v[110:111], v[100:101]
	;; [unrolled: 1-line block ×3, first 2 shown]
	v_mul_f64 v[100:101], v[58:59], s[36:37]
	v_fma_f64 v[110:111], v[54:55], s[26:27], -v[116:117]
	v_mul_f64 v[114:115], v[56:57], s[36:37]
	v_add_f64 v[48:49], v[62:63], v[48:49]
	v_fma_f64 v[62:63], v[54:55], s[26:27], v[116:117]
	v_add_f64 v[112:113], v[118:119], v[112:113]
	v_fma_f64 v[118:119], v[52:53], s[26:27], v[108:109]
	v_add_f64 v[60:61], v[60:61], v[50:51]
	v_fma_f64 v[50:51], v[52:53], s[26:27], -v[108:109]
	v_fma_f64 v[108:109], v[54:55], s[6:7], -v[100:101]
	v_add_f64 v[88:89], v[110:111], v[88:89]
	v_fma_f64 v[110:111], v[52:53], s[6:7], v[114:115]
	v_mul_f64 v[116:117], v[58:59], s[24:25]
	v_add_f64 v[62:63], v[62:63], v[96:97]
	v_mul_f64 v[96:97], v[56:57], s[24:25]
	v_add_f64 v[70:71], v[118:119], v[70:71]
	v_add_f64 v[86:87], v[50:51], v[86:87]
	v_add_f64 v[98:99], v[108:109], v[98:99]
	v_fma_f64 v[50:51], v[54:55], s[6:7], v[100:101]
	v_add_f64 v[100:101], v[110:111], v[102:103]
	v_fma_f64 v[102:103], v[52:53], s[6:7], -v[114:115]
	v_fma_f64 v[108:109], v[54:55], s[2:3], -v[116:117]
	v_mul_f64 v[110:111], v[58:59], s[30:31]
	v_fma_f64 v[114:115], v[52:53], s[2:3], v[96:97]
	v_mul_f64 v[118:119], v[56:57], s[30:31]
	v_mul_f64 v[58:59], v[58:59], s[16:17]
	v_add_f64 v[90:91], v[50:51], v[90:91]
	v_fma_f64 v[50:51], v[52:53], s[2:3], -v[96:97]
	v_add_f64 v[92:93], v[102:103], v[92:93]
	v_add_f64 v[96:97], v[108:109], v[68:69]
	v_fma_f64 v[68:69], v[54:55], s[28:29], -v[110:111]
	v_add_f64 v[102:103], v[114:115], v[104:105]
	v_fma_f64 v[104:105], v[52:53], s[28:29], v[118:119]
	v_add_f64 v[84:85], v[122:123], v[84:85]
	v_fma_f64 v[116:117], v[54:55], s[2:3], v[116:117]
	;; [unrolled: 2-line block ×3, first 2 shown]
	v_mul_f64 v[56:57], v[56:57], s[16:17]
	v_add_f64 v[110:111], v[68:69], v[74:75]
	v_mul_f64 v[68:69], v[80:81], s[30:31]
	v_add_f64 v[104:105], v[104:105], v[112:113]
	v_fma_f64 v[74:75], v[54:55], s[18:19], -v[58:59]
	v_mul_f64 v[112:113], v[82:83], s[30:31]
	v_add_f64 v[108:109], v[116:117], v[72:73]
	v_fma_f64 v[72:73], v[52:53], s[28:29], -v[118:119]
	v_add_f64 v[84:85], v[50:51], v[84:85]
	v_fma_f64 v[50:51], v[54:55], s[18:19], v[58:59]
	v_fma_f64 v[54:55], v[52:53], s[18:19], v[56:57]
	v_fma_f64 v[52:53], v[52:53], s[18:19], -v[56:57]
	v_fma_f64 v[56:57], v[76:77], s[28:29], -v[68:69]
	v_add_f64 v[114:115], v[74:75], v[66:67]
	v_fma_f64 v[58:59], v[78:79], s[28:29], v[112:113]
	v_mul_f64 v[66:67], v[80:81], s[34:35]
	v_mul_f64 v[116:117], v[82:83], s[34:35]
	v_fma_f64 v[68:69], v[76:77], s[28:29], v[68:69]
	v_add_f64 v[94:95], v[72:73], v[94:95]
	v_fma_f64 v[74:75], v[78:79], s[28:29], -v[112:113]
	v_add_f64 v[112:113], v[54:55], v[64:65]
	v_add_f64 v[118:119], v[50:51], v[48:49]
	;; [unrolled: 1-line block ×3, first 2 shown]
	v_fma_f64 v[54:55], v[76:77], s[2:3], -v[66:67]
	v_mul_f64 v[58:59], v[80:81], s[22:23]
	v_add_f64 v[72:73], v[68:69], v[62:63]
	v_mul_f64 v[62:63], v[82:83], s[22:23]
	v_fma_f64 v[64:65], v[76:77], s[2:3], v[66:67]
	v_fma_f64 v[66:67], v[78:79], s[2:3], -v[116:117]
	v_add_f64 v[48:49], v[56:57], v[88:89]
	v_fma_f64 v[56:57], v[78:79], s[2:3], v[116:117]
	v_add_f64 v[74:75], v[74:75], v[86:87]
	v_add_f64 v[86:87], v[52:53], v[60:61]
	v_mul_f64 v[88:89], v[82:83], s[16:17]
	v_fma_f64 v[60:61], v[78:79], s[26:27], v[62:63]
	v_add_f64 v[68:69], v[64:65], v[90:91]
	v_add_f64 v[70:71], v[66:67], v[92:93]
	v_fma_f64 v[64:65], v[76:77], s[26:27], v[58:59]
	v_mul_f64 v[66:67], v[80:81], s[16:17]
	v_add_f64 v[52:53], v[54:55], v[98:99]
	v_add_f64 v[54:55], v[56:57], v[100:101]
	v_fma_f64 v[56:57], v[76:77], s[26:27], -v[58:59]
	v_mul_f64 v[80:81], v[80:81], s[20:21]
	v_mul_f64 v[82:83], v[82:83], s[20:21]
	v_add_f64 v[58:59], v[60:61], v[102:103]
	v_add_f64 v[60:61], v[64:65], v[108:109]
	v_fma_f64 v[64:65], v[76:77], s[18:19], -v[66:67]
	v_fma_f64 v[90:91], v[78:79], s[18:19], v[88:89]
	v_fma_f64 v[92:93], v[76:77], s[18:19], v[66:67]
	v_add_f64 v[56:57], v[56:57], v[96:97]
	v_fma_f64 v[96:97], v[76:77], s[6:7], -v[80:81]
	v_fma_f64 v[98:99], v[78:79], s[6:7], v[82:83]
	v_fma_f64 v[88:89], v[78:79], s[18:19], -v[88:89]
	v_fma_f64 v[100:101], v[76:77], s[6:7], v[80:81]
	v_fma_f64 v[102:103], v[78:79], s[6:7], -v[82:83]
	v_fma_f64 v[62:63], v[78:79], s[26:27], -v[62:63]
	v_add_f64 v[64:65], v[64:65], v[110:111]
	v_add_f64 v[66:67], v[90:91], v[104:105]
	v_add_f64 v[80:81], v[96:97], v[114:115]
	v_add_f64 v[82:83], v[98:99], v[112:113]
	v_add_f64 v[76:77], v[92:93], v[84:85]
	v_add_f64 v[78:79], v[88:89], v[94:95]
	v_add_f64 v[84:85], v[100:101], v[118:119]
	v_add_f64 v[86:87], v[102:103], v[86:87]
	v_mul_lo_u16_e32 v88, 11, v165
	v_lshl_add_u32 v128, v88, 4, v167
	v_add_f64 v[62:63], v[62:63], v[106:107]
	ds_write_b128 v128, v[44:47]
	ds_write_b128 v128, v[48:51] offset:16
	ds_write_b128 v128, v[52:55] offset:32
	;; [unrolled: 1-line block ×10, first 2 shown]
	s_waitcnt lgkmcnt(0)
	s_barrier
	ds_read_b128 v[84:87], v166
	ds_read_b128 v[88:91], v166 offset:528
	ds_read_b128 v[96:99], v166 offset:3872
	ds_read_b128 v[104:107], v166 offset:4400
	ds_read_b128 v[100:103], v166 offset:1936
	ds_read_b128 v[92:95], v166 offset:1056
	ds_read_b128 v[116:119], v166 offset:2464
	ds_read_b128 v[112:115], v166 offset:2992
	ds_read_b128 v[108:111], v166 offset:4928
	s_load_dwordx2 s[2:3], s[4:5], 0x38
                                        ; implicit-def: $vgpr120_vgpr121
	s_and_saveexec_b64 s[4:5], vcc
	s_cbranch_execz .LBB0_3
; %bb.2:
	ds_read_b128 v[68:71], v166 offset:1584
	ds_read_b128 v[72:75], v166 offset:3520
	;; [unrolled: 1-line block ×3, first 2 shown]
.LBB0_3:
	s_or_b64 exec, exec, s[4:5]
	s_movk_i32 s4, 0x75
	v_mul_lo_u16_sdwa v44, v165, s4 dst_sel:DWORD dst_unused:UNUSED_PAD src0_sel:BYTE_0 src1_sel:DWORD
	v_sub_u16_sdwa v45, v165, v44 dst_sel:DWORD dst_unused:UNUSED_PAD src0_sel:DWORD src1_sel:BYTE_1
	v_lshrrev_b16_e32 v45, 1, v45
	v_and_b32_e32 v45, 0x7f, v45
	v_add_u16_sdwa v44, v45, v44 dst_sel:DWORD dst_unused:UNUSED_PAD src0_sel:DWORD src1_sel:BYTE_1
	v_lshrrev_b16_e32 v127, 3, v44
	v_mul_lo_u16_e32 v44, 11, v127
	v_sub_u16_e32 v159, v165, v44
	v_add_u16_e32 v44, 33, v165
	v_mul_lo_u16_sdwa v45, v44, s4 dst_sel:DWORD dst_unused:UNUSED_PAD src0_sel:BYTE_0 src1_sel:DWORD
	v_sub_u16_sdwa v46, v44, v45 dst_sel:DWORD dst_unused:UNUSED_PAD src0_sel:DWORD src1_sel:BYTE_1
	v_lshrrev_b16_e32 v46, 1, v46
	v_and_b32_e32 v46, 0x7f, v46
	v_add_u16_sdwa v45, v46, v45 dst_sel:DWORD dst_unused:UNUSED_PAD src0_sel:DWORD src1_sel:BYTE_1
	v_lshrrev_b16_e32 v160, 3, v45
	v_mul_lo_u16_e32 v45, 11, v160
	v_sub_u16_e32 v161, v44, v45
	v_mov_b32_e32 v44, 5
	v_lshlrev_b32_sdwa v45, v44, v161 dst_sel:DWORD dst_unused:UNUSED_PAD src0_sel:DWORD src1_sel:BYTE_0
	global_load_dwordx4 v[52:55], v45, s[14:15] offset:16
	global_load_dwordx4 v[56:59], v45, s[14:15]
	v_add_u16_e32 v45, 0x42, v165
	v_mul_lo_u16_sdwa v46, v45, s4 dst_sel:DWORD dst_unused:UNUSED_PAD src0_sel:BYTE_0 src1_sel:DWORD
	v_sub_u16_sdwa v47, v45, v46 dst_sel:DWORD dst_unused:UNUSED_PAD src0_sel:DWORD src1_sel:BYTE_1
	v_lshrrev_b16_e32 v47, 1, v47
	v_and_b32_e32 v47, 0x7f, v47
	v_add_u16_sdwa v46, v47, v46 dst_sel:DWORD dst_unused:UNUSED_PAD src0_sel:DWORD src1_sel:BYTE_1
	v_lshrrev_b16_e32 v162, 3, v46
	v_mul_lo_u16_e32 v46, 11, v162
	v_sub_u16_e32 v163, v45, v46
	v_lshlrev_b32_sdwa v45, v44, v163 dst_sel:DWORD dst_unused:UNUSED_PAD src0_sel:DWORD src1_sel:BYTE_0
	global_load_dwordx4 v[60:63], v45, s[14:15] offset:16
	global_load_dwordx4 v[64:67], v45, s[14:15]
	v_add_u16_e32 v45, 0x63, v165
	v_mul_lo_u16_sdwa v46, v45, s4 dst_sel:DWORD dst_unused:UNUSED_PAD src0_sel:BYTE_0 src1_sel:DWORD
	v_sub_u16_sdwa v47, v45, v46 dst_sel:DWORD dst_unused:UNUSED_PAD src0_sel:DWORD src1_sel:BYTE_1
	v_lshrrev_b16_e32 v47, 1, v47
	v_and_b32_e32 v47, 0x7f, v47
	v_add_u16_sdwa v46, v47, v46 dst_sel:DWORD dst_unused:UNUSED_PAD src0_sel:DWORD src1_sel:BYTE_1
	v_lshrrev_b16_e32 v168, 3, v46
	v_mul_lo_u16_e32 v46, 11, v168
	v_lshlrev_b16_e32 v76, 1, v159
	v_sub_u16_e32 v169, v45, v46
	v_and_b32_e32 v76, 0xfe, v76
	v_lshlrev_b32_sdwa v48, v44, v169 dst_sel:DWORD dst_unused:UNUSED_PAD src0_sel:DWORD src1_sel:BYTE_0
	v_lshlrev_b32_e32 v76, 4, v76
	global_load_dwordx4 v[44:47], v48, s[14:15] offset:16
	s_nop 0
	global_load_dwordx4 v[48:51], v48, s[14:15]
	s_nop 0
	global_load_dwordx4 v[80:83], v76, s[14:15]
	s_nop 0
	global_load_dwordx4 v[76:79], v76, s[14:15] offset:16
	s_mov_b32 s4, 0xe8584caa
	s_mov_b32 s5, 0x3febb67a
	;; [unrolled: 1-line block ×4, first 2 shown]
	s_waitcnt vmcnt(0) lgkmcnt(0)
	s_barrier
	v_mul_f64 v[131:132], v[106:107], v[54:55]
	v_mul_f64 v[125:126], v[118:119], v[58:59]
	;; [unrolled: 1-line block ×4, first 2 shown]
	v_fma_f64 v[116:117], v[116:117], v[56:57], -v[125:126]
	v_fma_f64 v[118:119], v[118:119], v[56:57], v[129:130]
	v_mul_f64 v[139:140], v[110:111], v[62:63]
	v_mul_f64 v[135:136], v[114:115], v[66:67]
	;; [unrolled: 1-line block ×4, first 2 shown]
	v_fma_f64 v[125:126], v[104:105], v[52:53], -v[131:132]
	v_fma_f64 v[129:130], v[106:107], v[52:53], v[133:134]
	v_fma_f64 v[131:132], v[108:109], v[60:61], -v[139:140]
	v_fma_f64 v[112:113], v[112:113], v[64:65], -v[135:136]
	v_fma_f64 v[135:136], v[110:111], v[60:61], v[141:142]
	v_fma_f64 v[114:115], v[114:115], v[64:65], v[137:138]
	v_mul_f64 v[147:148], v[122:123], v[46:47]
	v_mul_f64 v[151:152], v[102:103], v[82:83]
	;; [unrolled: 1-line block ×8, first 2 shown]
	v_add_f64 v[133:134], v[92:93], v[112:113]
	v_fma_f64 v[100:101], v[100:101], v[80:81], -v[151:152]
	v_fma_f64 v[102:103], v[102:103], v[80:81], v[153:154]
	v_fma_f64 v[108:109], v[96:97], v[76:77], -v[155:156]
	v_fma_f64 v[110:111], v[98:99], v[76:77], v[157:158]
	;; [unrolled: 2-line block ×4, first 2 shown]
	v_add_f64 v[98:99], v[116:117], v[125:126]
	v_add_f64 v[120:121], v[118:119], -v[129:130]
	v_add_f64 v[122:123], v[90:91], v[118:119]
	v_add_f64 v[118:119], v[118:119], v[129:130]
	;; [unrolled: 1-line block ×3, first 2 shown]
	v_add_f64 v[151:152], v[102:103], -v[110:111]
	v_add_f64 v[153:154], v[86:87], v[102:103]
	v_add_f64 v[102:103], v[102:103], v[110:111]
	;; [unrolled: 1-line block ×3, first 2 shown]
	v_add_f64 v[116:117], v[116:117], -v[125:126]
	v_add_f64 v[137:138], v[112:113], v[131:132]
	v_add_f64 v[139:140], v[114:115], -v[135:136]
	v_add_f64 v[141:142], v[94:95], v[114:115]
	v_add_f64 v[114:115], v[114:115], v[135:136]
	v_add_f64 v[143:144], v[112:113], -v[131:132]
	v_add_f64 v[145:146], v[104:105], v[72:73]
	v_add_f64 v[147:148], v[106:107], v[74:75]
	;; [unrolled: 1-line block ×3, first 2 shown]
	v_add_f64 v[155:156], v[100:101], -v[108:109]
	v_fma_f64 v[88:89], v[98:99], -0.5, v[88:89]
	v_fma_f64 v[90:91], v[118:119], -0.5, v[90:91]
	;; [unrolled: 1-line block ×4, first 2 shown]
	v_add_f64 v[98:99], v[122:123], v[129:130]
	v_fma_f64 v[92:93], v[137:138], -0.5, v[92:93]
	v_fma_f64 v[94:95], v[114:115], -0.5, v[94:95]
	v_add_f64 v[100:101], v[112:113], v[108:109]
	v_add_f64 v[102:103], v[153:154], v[110:111]
	v_fma_f64 v[108:109], v[120:121], s[4:5], v[88:89]
	v_fma_f64 v[112:113], v[120:121], s[6:7], v[88:89]
	;; [unrolled: 1-line block ×8, first 2 shown]
	v_fma_f64 v[84:85], v[145:146], -0.5, v[68:69]
	v_add_f64 v[88:89], v[106:107], -v[74:75]
	v_fma_f64 v[86:87], v[147:148], -0.5, v[70:71]
	v_add_f64 v[90:91], v[104:105], -v[72:73]
	v_add_f64 v[96:97], v[96:97], v[125:126]
	v_mad_legacy_u16 v125, v127, 33, v159
	v_add_f64 v[129:130], v[133:134], v[131:132]
	v_fma_f64 v[133:134], v[139:140], s[4:5], v[92:93]
	v_fma_f64 v[137:138], v[139:140], s[6:7], v[92:93]
	v_add_f64 v[131:132], v[141:142], v[135:136]
	v_fma_f64 v[135:136], v[143:144], s[6:7], v[94:95]
	v_fma_f64 v[139:140], v[143:144], s[4:5], v[94:95]
	;; [unrolled: 1-line block ×4, first 2 shown]
	v_and_b32_e32 v125, 0xff, v125
	v_lshl_add_u32 v170, v125, 4, v167
	ds_write_b128 v170, v[100:103]
	ds_write_b128 v170, v[116:119] offset:176
	ds_write_b128 v170, v[120:123] offset:352
	v_mul_u32_u24_e32 v100, 33, v160
	v_add_u32_sdwa v100, v100, v161 dst_sel:DWORD dst_unused:UNUSED_PAD src0_sel:DWORD src1_sel:BYTE_0
	v_lshl_add_u32 v171, v100, 4, v167
	ds_write_b128 v171, v[96:99]
	ds_write_b128 v171, v[108:111] offset:176
	ds_write_b128 v171, v[112:115] offset:352
	v_mul_u32_u24_e32 v96, 33, v162
	v_add_u32_sdwa v96, v96, v163 dst_sel:DWORD dst_unused:UNUSED_PAD src0_sel:DWORD src1_sel:BYTE_0
	v_lshl_add_u32 v172, v96, 4, v167
	ds_write_b128 v172, v[129:132]
	ds_write_b128 v172, v[133:136] offset:176
	ds_write_b128 v172, v[137:140] offset:352
	s_and_saveexec_b64 s[6:7], vcc
	s_cbranch_execz .LBB0_5
; %bb.4:
	v_add_f64 v[96:97], v[70:71], v[106:107]
	v_add_f64 v[68:69], v[68:69], v[104:105]
	v_mul_f64 v[90:91], v[90:91], s[4:5]
	v_mul_f64 v[88:89], v[88:89], s[4:5]
	v_add_f64 v[74:75], v[96:97], v[74:75]
	v_add_f64 v[72:73], v[68:69], v[72:73]
	v_add_f64 v[70:71], v[86:87], -v[90:91]
	v_add_f64 v[68:69], v[88:89], v[84:85]
	v_mul_u32_u24_e32 v84, 33, v168
	v_add_u32_sdwa v84, v84, v169 dst_sel:DWORD dst_unused:UNUSED_PAD src0_sel:DWORD src1_sel:BYTE_0
	v_lshl_add_u32 v84, v84, 4, v167
	ds_write_b128 v84, v[72:75]
	ds_write_b128 v84, v[68:71] offset:176
	ds_write_b128 v84, v[92:95] offset:352
.LBB0_5:
	s_or_b64 exec, exec, s[6:7]
	v_mov_b32_e32 v69, s15
	s_movk_i32 s4, 0xa0
	v_mov_b32_e32 v68, s14
	v_mad_u64_u32 v[104:105], s[4:5], v165, s4, v[68:69]
	s_waitcnt lgkmcnt(0)
	s_barrier
	global_load_dwordx4 v[116:119], v[104:105], off offset:352
	global_load_dwordx4 v[108:111], v[104:105], off offset:368
	;; [unrolled: 1-line block ×9, first 2 shown]
	s_nop 0
	global_load_dwordx4 v[104:107], v[104:105], off offset:496
	ds_read_b128 v[129:132], v166
	ds_read_b128 v[133:136], v166 offset:528
	ds_read_b128 v[137:140], v166 offset:1056
	;; [unrolled: 1-line block ×10, first 2 shown]
	s_mov_b32 s18, 0xf8bb580b
	s_mov_b32 s19, 0xbfe14ced
	v_mov_b32_e32 v120, s13
	s_mov_b32 s16, 0x8764f0ba
	s_mov_b32 s4, 0x8eee2c13
	;; [unrolled: 1-line block ×26, first 2 shown]
	v_addc_co_u32_e64 v120, s[0:1], 0, v120, s[0:1]
	s_movk_i32 s0, 0x1000
	s_movk_i32 s33, 0x16b0
	s_waitcnt vmcnt(9) lgkmcnt(9)
	v_mul_f64 v[121:122], v[135:136], v[118:119]
	v_mul_f64 v[125:126], v[133:134], v[118:119]
	s_waitcnt vmcnt(8) lgkmcnt(8)
	v_mul_f64 v[161:162], v[139:140], v[110:111]
	v_mul_f64 v[185:186], v[137:138], v[110:111]
	s_waitcnt vmcnt(7) lgkmcnt(7)
	v_mul_f64 v[187:188], v[143:144], v[90:91]
	s_waitcnt vmcnt(6) lgkmcnt(6)
	;; [unrolled: 2-line block ×4, first 2 shown]
	v_mul_f64 v[207:208], v[175:176], v[70:71]
	v_mul_f64 v[209:210], v[173:174], v[70:71]
	s_waitcnt vmcnt(1) lgkmcnt(1)
	v_mul_f64 v[211:212], v[179:180], v[102:103]
	v_mul_f64 v[213:214], v[177:178], v[102:103]
	v_fma_f64 v[121:122], v[133:134], v[116:117], -v[121:122]
	v_mul_f64 v[199:200], v[155:156], v[98:99]
	v_mul_f64 v[203:204], v[159:160], v[86:87]
	s_waitcnt vmcnt(0) lgkmcnt(0)
	v_mul_f64 v[215:216], v[183:184], v[106:107]
	v_fma_f64 v[125:126], v[135:136], v[116:117], v[125:126]
	v_fma_f64 v[133:134], v[137:138], v[108:109], -v[161:162]
	v_fma_f64 v[161:162], v[173:174], v[68:69], -v[207:208]
	v_fma_f64 v[173:174], v[175:176], v[68:69], v[209:210]
	v_fma_f64 v[175:176], v[177:178], v[100:101], -v[211:212]
	v_fma_f64 v[177:178], v[179:180], v[100:101], v[213:214]
	v_add_f64 v[179:180], v[129:130], v[121:122]
	v_mul_f64 v[189:190], v[141:142], v[90:91]
	v_mul_f64 v[193:194], v[145:146], v[74:75]
	;; [unrolled: 1-line block ×6, first 2 shown]
	v_fma_f64 v[135:136], v[139:140], v[108:109], v[185:186]
	v_fma_f64 v[137:138], v[141:142], v[88:89], -v[187:188]
	v_fma_f64 v[141:142], v[145:146], v[72:73], -v[191:192]
	;; [unrolled: 1-line block ×6, first 2 shown]
	v_add_f64 v[181:182], v[131:132], v[125:126]
	v_add_f64 v[187:188], v[133:134], v[175:176]
	v_add_f64 v[191:192], v[133:134], -v[175:176]
	v_add_f64 v[133:134], v[179:180], v[133:134]
	v_fma_f64 v[139:140], v[143:144], v[88:89], v[189:190]
	v_fma_f64 v[143:144], v[147:148], v[72:73], v[193:194]
	v_add_f64 v[189:190], v[135:136], v[177:178]
	v_add_f64 v[193:194], v[135:136], -v[177:178]
	v_add_f64 v[135:136], v[181:182], v[135:136]
	v_fma_f64 v[147:148], v[151:152], v[112:113], v[197:198]
	v_fma_f64 v[151:152], v[155:156], v[96:97], v[201:202]
	v_add_f64 v[133:134], v[133:134], v[137:138]
	v_fma_f64 v[155:156], v[159:160], v[84:85], v[205:206]
	v_fma_f64 v[159:160], v[183:184], v[104:105], v[217:218]
	v_add_f64 v[183:184], v[121:122], v[157:158]
	v_add_f64 v[121:122], v[121:122], -v[157:158]
	v_add_f64 v[135:136], v[135:136], v[139:140]
	v_mul_f64 v[207:208], v[193:194], s[4:5]
	v_mul_f64 v[209:210], v[191:192], s[4:5]
	v_add_f64 v[133:134], v[133:134], v[141:142]
	v_mul_f64 v[213:214], v[191:192], s[20:21]
	v_add_f64 v[185:186], v[125:126], v[159:160]
	v_add_f64 v[125:126], v[125:126], -v[159:160]
	v_mul_f64 v[181:182], v[121:122], s[18:19]
	v_add_f64 v[135:136], v[135:136], v[143:144]
	v_mul_f64 v[197:198], v[121:122], s[4:5]
	v_mul_f64 v[201:202], v[121:122], s[12:13]
	v_add_f64 v[133:134], v[133:134], v[145:146]
	v_mul_f64 v[205:206], v[121:122], s[20:21]
	v_mul_f64 v[121:122], v[121:122], s[24:25]
	;; [unrolled: 1-line block ×4, first 2 shown]
	v_add_f64 v[135:136], v[135:136], v[147:148]
	v_mul_f64 v[199:200], v[125:126], s[12:13]
	v_mul_f64 v[203:204], v[125:126], s[20:21]
	v_add_f64 v[133:134], v[133:134], v[149:150]
	v_mul_f64 v[125:126], v[125:126], s[24:25]
	v_fma_f64 v[217:218], v[185:186], s[16:17], v[181:182]
	v_fma_f64 v[215:216], v[183:184], s[16:17], -v[179:180]
	v_fma_f64 v[179:180], v[183:184], s[16:17], v[179:180]
	v_add_f64 v[135:136], v[135:136], v[151:152]
	v_fma_f64 v[181:182], v[185:186], s[16:17], -v[181:182]
	v_fma_f64 v[219:220], v[183:184], s[6:7], -v[195:196]
	v_add_f64 v[133:134], v[133:134], v[153:154]
	v_fma_f64 v[221:222], v[185:186], s[6:7], v[197:198]
	v_fma_f64 v[195:196], v[183:184], s[6:7], v[195:196]
	v_fma_f64 v[197:198], v[185:186], s[6:7], -v[197:198]
	v_fma_f64 v[223:224], v[183:184], s[14:15], -v[199:200]
	v_add_f64 v[135:136], v[135:136], v[155:156]
	v_fma_f64 v[225:226], v[185:186], s[14:15], v[201:202]
	v_fma_f64 v[199:200], v[183:184], s[14:15], v[199:200]
	v_add_f64 v[133:134], v[133:134], v[161:162]
	v_fma_f64 v[201:202], v[185:186], s[14:15], -v[201:202]
	v_fma_f64 v[227:228], v[183:184], s[22:23], -v[203:204]
	v_fma_f64 v[229:230], v[185:186], s[22:23], v[205:206]
	v_fma_f64 v[203:204], v[183:184], s[22:23], v[203:204]
	v_fma_f64 v[205:206], v[185:186], s[22:23], -v[205:206]
	v_fma_f64 v[231:232], v[183:184], s[26:27], -v[125:126]
	v_fma_f64 v[233:234], v[185:186], s[26:27], v[121:122]
	v_fma_f64 v[125:126], v[183:184], s[26:27], v[125:126]
	v_fma_f64 v[121:122], v[185:186], s[26:27], -v[121:122]
	v_fma_f64 v[183:184], v[187:188], s[6:7], -v[207:208]
	v_fma_f64 v[185:186], v[189:190], s[6:7], v[209:210]
	v_add_f64 v[215:216], v[129:130], v[215:216]
	v_add_f64 v[217:218], v[131:132], v[217:218]
	v_add_f64 v[135:136], v[135:136], v[173:174]
	v_add_f64 v[133:134], v[133:134], v[175:176]
	v_add_f64 v[179:180], v[129:130], v[179:180]
	v_add_f64 v[181:182], v[131:132], v[181:182]
	v_add_f64 v[219:220], v[129:130], v[219:220]
	v_add_f64 v[221:222], v[131:132], v[221:222]
	v_add_f64 v[195:196], v[129:130], v[195:196]
	v_add_f64 v[197:198], v[131:132], v[197:198]
	v_add_f64 v[223:224], v[129:130], v[223:224]
	v_add_f64 v[225:226], v[131:132], v[225:226]
	v_add_f64 v[199:200], v[129:130], v[199:200]
	v_add_f64 v[201:202], v[131:132], v[201:202]
	v_add_f64 v[135:136], v[135:136], v[177:178]
	v_add_f64 v[175:176], v[129:130], v[227:228]
	v_add_f64 v[177:178], v[131:132], v[229:230]
	v_add_f64 v[203:204], v[129:130], v[203:204]
	v_add_f64 v[205:206], v[131:132], v[205:206]
	v_add_f64 v[227:228], v[129:130], v[231:232]
	v_add_f64 v[229:230], v[131:132], v[233:234]
	v_add_f64 v[133:134], v[133:134], v[157:158]
	v_fma_f64 v[157:158], v[189:190], s[6:7], -v[209:210]
	v_fma_f64 v[209:210], v[189:190], s[22:23], v[213:214]
	v_add_f64 v[125:126], v[129:130], v[125:126]
	v_add_f64 v[121:122], v[131:132], v[121:122]
	;; [unrolled: 1-line block ×4, first 2 shown]
	v_mul_f64 v[183:184], v[193:194], s[34:35]
	v_mul_f64 v[185:186], v[191:192], s[34:35]
	;; [unrolled: 1-line block ×3, first 2 shown]
	v_fma_f64 v[207:208], v[187:188], s[6:7], v[207:208]
	v_add_f64 v[157:158], v[157:158], v[181:182]
	v_add_f64 v[181:182], v[209:210], v[221:222]
	v_mul_f64 v[209:210], v[191:192], s[28:29]
	v_fma_f64 v[213:214], v[189:190], s[22:23], -v[213:214]
	v_fma_f64 v[215:216], v[187:188], s[26:27], -v[183:184]
	v_fma_f64 v[217:218], v[189:190], s[26:27], v[185:186]
	v_fma_f64 v[183:184], v[187:188], s[26:27], v[183:184]
	v_fma_f64 v[185:186], v[189:190], s[26:27], -v[185:186]
	v_mul_f64 v[191:192], v[191:192], s[30:31]
	v_add_f64 v[135:136], v[135:136], v[159:160]
	v_fma_f64 v[159:160], v[187:188], s[22:23], -v[211:212]
	v_add_f64 v[179:180], v[207:208], v[179:180]
	v_mul_f64 v[207:208], v[193:194], s[28:29]
	v_fma_f64 v[211:212], v[187:188], s[22:23], v[211:212]
	v_fma_f64 v[221:222], v[189:190], s[14:15], v[209:210]
	v_add_f64 v[197:198], v[213:214], v[197:198]
	v_add_f64 v[213:214], v[217:218], v[225:226]
	;; [unrolled: 1-line block ×4, first 2 shown]
	v_add_f64 v[199:200], v[139:140], -v[173:174]
	v_add_f64 v[201:202], v[137:138], -v[161:162]
	v_mul_f64 v[193:194], v[193:194], s[30:31]
	v_fma_f64 v[209:210], v[189:190], s[14:15], -v[209:210]
	v_fma_f64 v[217:218], v[189:190], s[16:17], v[191:192]
	v_add_f64 v[159:160], v[159:160], v[219:220]
	v_fma_f64 v[219:220], v[187:188], s[14:15], -v[207:208]
	v_add_f64 v[195:196], v[211:212], v[195:196]
	v_add_f64 v[211:212], v[215:216], v[223:224]
	v_fma_f64 v[207:208], v[187:188], s[14:15], v[207:208]
	v_add_f64 v[137:138], v[137:138], v[161:162]
	v_add_f64 v[139:140], v[139:140], v[173:174]
	v_mul_f64 v[161:162], v[199:200], s[12:13]
	v_mul_f64 v[173:174], v[201:202], s[12:13]
	v_fma_f64 v[215:216], v[187:188], s[16:17], -v[193:194]
	v_add_f64 v[205:206], v[209:210], v[205:206]
	v_fma_f64 v[189:190], v[189:190], s[16:17], -v[191:192]
	v_add_f64 v[209:210], v[217:218], v[229:230]
	v_mul_f64 v[217:218], v[201:202], s[34:35]
	v_add_f64 v[203:204], v[207:208], v[203:204]
	v_fma_f64 v[187:188], v[187:188], s[16:17], v[193:194]
	v_fma_f64 v[191:192], v[137:138], s[14:15], -v[161:162]
	v_fma_f64 v[193:194], v[139:140], s[14:15], v[173:174]
	v_add_f64 v[207:208], v[215:216], v[227:228]
	v_mul_f64 v[215:216], v[199:200], s[34:35]
	v_add_f64 v[121:122], v[189:190], v[121:122]
	v_fma_f64 v[161:162], v[137:138], s[14:15], v[161:162]
	v_fma_f64 v[173:174], v[139:140], s[14:15], -v[173:174]
	v_fma_f64 v[189:190], v[139:140], s[26:27], v[217:218]
	v_add_f64 v[125:126], v[187:188], v[125:126]
	v_add_f64 v[129:130], v[191:192], v[129:130]
	;; [unrolled: 1-line block ×3, first 2 shown]
	v_fma_f64 v[187:188], v[137:138], s[26:27], -v[215:216]
	v_mul_f64 v[191:192], v[199:200], s[36:37]
	v_mul_f64 v[193:194], v[201:202], s[36:37]
	v_add_f64 v[161:162], v[161:162], v[179:180]
	v_add_f64 v[157:158], v[173:174], v[157:158]
	;; [unrolled: 1-line block ×3, first 2 shown]
	v_fma_f64 v[179:180], v[137:138], s[26:27], v[215:216]
	v_fma_f64 v[181:182], v[139:140], s[26:27], -v[217:218]
	v_mul_f64 v[215:216], v[199:200], s[18:19]
	v_mul_f64 v[217:218], v[201:202], s[18:19]
	v_add_f64 v[175:176], v[219:220], v[175:176]
	v_add_f64 v[177:178], v[221:222], v[177:178]
	;; [unrolled: 1-line block ×3, first 2 shown]
	v_fma_f64 v[187:188], v[137:138], s[6:7], -v[191:192]
	v_fma_f64 v[189:190], v[139:140], s[6:7], v[193:194]
	v_fma_f64 v[191:192], v[137:138], s[6:7], v[191:192]
	v_fma_f64 v[193:194], v[139:140], s[6:7], -v[193:194]
	v_add_f64 v[179:180], v[179:180], v[195:196]
	v_add_f64 v[181:182], v[181:182], v[197:198]
	v_fma_f64 v[195:196], v[137:138], s[16:17], -v[215:216]
	v_fma_f64 v[197:198], v[139:140], s[16:17], v[217:218]
	v_add_f64 v[187:188], v[187:188], v[211:212]
	v_add_f64 v[189:190], v[189:190], v[213:214]
	;; [unrolled: 1-line block ×4, first 2 shown]
	v_mul_f64 v[191:192], v[199:200], s[20:21]
	v_mul_f64 v[193:194], v[201:202], s[20:21]
	v_add_f64 v[175:176], v[195:196], v[175:176]
	v_add_f64 v[177:178], v[197:198], v[177:178]
	v_add_f64 v[195:196], v[143:144], -v[155:156]
	v_add_f64 v[197:198], v[141:142], -v[153:154]
	v_fma_f64 v[199:200], v[137:138], s[16:17], v[215:216]
	v_fma_f64 v[201:202], v[139:140], s[16:17], -v[217:218]
	v_fma_f64 v[211:212], v[137:138], s[22:23], -v[191:192]
	v_fma_f64 v[213:214], v[139:140], s[22:23], v[193:194]
	v_add_f64 v[141:142], v[141:142], v[153:154]
	v_add_f64 v[143:144], v[143:144], v[155:156]
	v_mul_f64 v[153:154], v[195:196], s[20:21]
	v_mul_f64 v[155:156], v[197:198], s[20:21]
	v_add_f64 v[199:200], v[199:200], v[203:204]
	v_add_f64 v[201:202], v[201:202], v[205:206]
	;; [unrolled: 1-line block ×4, first 2 shown]
	v_fma_f64 v[137:138], v[137:138], s[22:23], v[191:192]
	v_fma_f64 v[139:140], v[139:140], s[22:23], -v[193:194]
	v_fma_f64 v[207:208], v[141:142], s[22:23], -v[153:154]
	v_fma_f64 v[209:210], v[143:144], s[22:23], v[155:156]
	v_fma_f64 v[153:154], v[141:142], s[22:23], v[153:154]
	v_fma_f64 v[155:156], v[143:144], s[22:23], -v[155:156]
	v_mul_f64 v[191:192], v[195:196], s[28:29]
	v_mul_f64 v[193:194], v[197:198], s[28:29]
	v_add_f64 v[125:126], v[137:138], v[125:126]
	v_add_f64 v[121:122], v[139:140], v[121:122]
	;; [unrolled: 1-line block ×6, first 2 shown]
	v_mul_f64 v[157:158], v[195:196], s[18:19]
	v_mul_f64 v[161:162], v[197:198], s[18:19]
	v_fma_f64 v[137:138], v[141:142], s[14:15], -v[191:192]
	v_fma_f64 v[139:140], v[143:144], s[14:15], v[193:194]
	v_fma_f64 v[191:192], v[141:142], s[14:15], v[191:192]
	v_fma_f64 v[193:194], v[143:144], s[14:15], -v[193:194]
	v_fma_f64 v[207:208], v[141:142], s[16:17], -v[157:158]
	v_fma_f64 v[209:210], v[143:144], s[16:17], v[161:162]
	v_fma_f64 v[157:158], v[141:142], s[16:17], v[157:158]
	v_fma_f64 v[161:162], v[143:144], s[16:17], -v[161:162]
	v_add_f64 v[159:160], v[137:138], v[159:160]
	v_add_f64 v[173:174], v[139:140], v[173:174]
	v_mul_f64 v[137:138], v[195:196], s[24:25]
	v_mul_f64 v[139:140], v[197:198], s[24:25]
	v_add_f64 v[179:180], v[191:192], v[179:180]
	v_add_f64 v[181:182], v[193:194], v[181:182]
	;; [unrolled: 1-line block ×4, first 2 shown]
	v_add_f64 v[183:184], v[147:148], -v[151:152]
	v_add_f64 v[185:186], v[145:146], -v[149:150]
	v_mul_f64 v[191:192], v[195:196], s[36:37]
	v_mul_f64 v[193:194], v[197:198], s[36:37]
	v_fma_f64 v[211:212], v[141:142], s[26:27], -v[137:138]
	v_fma_f64 v[213:214], v[143:144], s[26:27], v[139:140]
	v_fma_f64 v[137:138], v[141:142], s[26:27], v[137:138]
	v_fma_f64 v[139:140], v[143:144], s[26:27], -v[139:140]
	v_add_f64 v[195:196], v[145:146], v[149:150]
	v_add_f64 v[197:198], v[147:148], v[151:152]
	v_mul_f64 v[145:146], v[183:184], s[24:25]
	v_mul_f64 v[147:148], v[185:186], s[24:25]
	v_fma_f64 v[149:150], v[141:142], s[6:7], -v[191:192]
	v_fma_f64 v[151:152], v[143:144], s[6:7], v[193:194]
	v_add_f64 v[199:200], v[137:138], v[199:200]
	v_add_f64 v[201:202], v[139:140], v[201:202]
	v_fma_f64 v[137:138], v[141:142], s[6:7], v[191:192]
	v_fma_f64 v[139:140], v[143:144], s[6:7], -v[193:194]
	v_fma_f64 v[141:142], v[195:196], s[26:27], -v[145:146]
	v_fma_f64 v[143:144], v[197:198], s[26:27], v[147:148]
	v_add_f64 v[191:192], v[149:150], v[203:204]
	v_add_f64 v[193:194], v[151:152], v[205:206]
	v_mul_f64 v[149:150], v[183:184], s[30:31]
	v_mul_f64 v[151:152], v[185:186], s[30:31]
	v_add_f64 v[125:126], v[137:138], v[125:126]
	v_add_f64 v[121:122], v[139:140], v[121:122]
	;; [unrolled: 1-line block ×4, first 2 shown]
	v_fma_f64 v[137:138], v[195:196], s[26:27], v[145:146]
	v_fma_f64 v[139:140], v[197:198], s[26:27], -v[147:148]
	v_fma_f64 v[141:142], v[195:196], s[16:17], -v[149:150]
	v_fma_f64 v[143:144], v[197:198], s[16:17], v[151:152]
	v_mul_f64 v[203:204], v[183:184], s[20:21]
	v_fma_f64 v[145:146], v[195:196], s[16:17], v[149:150]
	v_mul_f64 v[149:150], v[185:186], s[20:21]
	v_fma_f64 v[147:148], v[197:198], s[16:17], -v[151:152]
	v_add_f64 v[187:188], v[207:208], v[187:188]
	v_add_f64 v[189:190], v[209:210], v[189:190]
	;; [unrolled: 1-line block ×6, first 2 shown]
	v_fma_f64 v[151:152], v[195:196], s[22:23], -v[203:204]
	v_add_f64 v[145:146], v[145:146], v[179:180]
	v_fma_f64 v[153:154], v[197:198], s[22:23], v[149:150]
	v_fma_f64 v[155:156], v[195:196], s[22:23], v[203:204]
	v_fma_f64 v[159:160], v[197:198], s[22:23], -v[149:150]
	v_mul_f64 v[173:174], v[183:184], s[36:37]
	v_mul_f64 v[179:180], v[185:186], s[36:37]
	v_add_f64 v[147:148], v[147:148], v[181:182]
	v_mul_f64 v[181:182], v[183:184], s[12:13]
	v_mul_f64 v[183:184], v[185:186], s[12:13]
	v_add_f64 v[175:176], v[211:212], v[175:176]
	v_add_f64 v[177:178], v[213:214], v[177:178]
	v_add_f64 v[149:150], v[151:152], v[187:188]
	v_add_f64 v[151:152], v[153:154], v[189:190]
	v_add_f64 v[153:154], v[155:156], v[157:158]
	v_add_f64 v[155:156], v[159:160], v[161:162]
	v_fma_f64 v[157:158], v[195:196], s[6:7], -v[173:174]
	v_fma_f64 v[159:160], v[197:198], s[6:7], v[179:180]
	v_fma_f64 v[185:186], v[195:196], s[14:15], -v[181:182]
	v_fma_f64 v[187:188], v[197:198], s[14:15], v[183:184]
	v_fma_f64 v[181:182], v[195:196], s[14:15], v[181:182]
	v_fma_f64 v[183:184], v[197:198], s[14:15], -v[183:184]
	v_fma_f64 v[161:162], v[195:196], s[6:7], v[173:174]
	v_fma_f64 v[189:190], v[197:198], s[6:7], -v[179:180]
	v_add_f64 v[157:158], v[157:158], v[175:176]
	v_add_f64 v[159:160], v[159:160], v[177:178]
	;; [unrolled: 1-line block ×6, first 2 shown]
	v_add_co_u32_e64 v121, s[0:1], s0, v124
	v_add_f64 v[173:174], v[161:162], v[199:200]
	v_add_f64 v[175:176], v[189:190], v[201:202]
	v_addc_co_u32_e64 v122, s[0:1], 0, v120, s[0:1]
	ds_write_b128 v166, v[133:136]
	ds_write_b128 v166, v[129:132] offset:528
	ds_write_b128 v166, v[141:144] offset:1056
	;; [unrolled: 1-line block ×10, first 2 shown]
	s_waitcnt lgkmcnt(0)
	s_barrier
	global_load_dwordx4 v[129:132], v[121:122], off offset:1712
	v_add_co_u32_e64 v121, s[0:1], s33, v124
	v_addc_co_u32_e64 v122, s[0:1], 0, v120, s[0:1]
	global_load_dwordx4 v[133:136], v[121:122], off offset:528
	global_load_dwordx4 v[137:140], v[121:122], off offset:1056
	;; [unrolled: 1-line block ×7, first 2 shown]
	s_movk_i32 s0, 0x2000
	v_add_co_u32_e64 v161, s[0:1], s0, v124
	v_addc_co_u32_e64 v162, s[0:1], 0, v120, s[0:1]
	global_load_dwordx4 v[120:123], v[161:162], off offset:1840
	global_load_dwordx4 v[124:127], v[161:162], off offset:2368
	;; [unrolled: 1-line block ×3, first 2 shown]
	ds_read_b128 v[177:180], v166
	ds_read_b128 v[181:184], v166 offset:528
	ds_read_b128 v[185:188], v166 offset:1056
	;; [unrolled: 1-line block ×3, first 2 shown]
	s_mov_b32 s1, 0x3fe82f19
	s_mov_b32 s0, s20
	s_waitcnt vmcnt(9) lgkmcnt(2)
	v_mul_f64 v[193:194], v[183:184], v[135:136]
	v_mul_f64 v[161:162], v[179:180], v[131:132]
	;; [unrolled: 1-line block ×4, first 2 shown]
	s_waitcnt vmcnt(8) lgkmcnt(1)
	v_mul_f64 v[195:196], v[187:188], v[139:140]
	v_mul_f64 v[139:140], v[185:186], v[139:140]
	v_fma_f64 v[177:178], v[177:178], v[129:130], -v[161:162]
	v_fma_f64 v[179:180], v[179:180], v[129:130], v[131:132]
	v_fma_f64 v[129:130], v[181:182], v[133:134], -v[193:194]
	v_fma_f64 v[131:132], v[183:184], v[133:134], v[135:136]
	;; [unrolled: 2-line block ×3, first 2 shown]
	ds_write_b128 v166, v[177:180]
	ds_write_b128 v166, v[129:132] offset:528
	ds_read_b128 v[129:132], v166 offset:2112
	ds_read_b128 v[137:140], v166 offset:3168
	;; [unrolled: 1-line block ×3, first 2 shown]
	ds_write_b128 v166, v[133:136] offset:1056
	ds_read_b128 v[133:136], v166 offset:2640
	s_waitcnt vmcnt(7) lgkmcnt(7)
	v_mul_f64 v[161:162], v[191:192], v[143:144]
	v_mul_f64 v[143:144], v[189:190], v[143:144]
	s_waitcnt vmcnt(6) lgkmcnt(4)
	v_mul_f64 v[185:186], v[131:132], v[147:148]
	v_mul_f64 v[147:148], v[129:130], v[147:148]
	;; [unrolled: 3-line block ×3, first 2 shown]
	s_waitcnt vmcnt(4)
	v_mul_f64 v[193:194], v[139:140], v[155:156]
	v_mul_f64 v[155:156], v[137:138], v[155:156]
	v_fma_f64 v[181:182], v[189:190], v[141:142], -v[161:162]
	v_fma_f64 v[183:184], v[191:192], v[141:142], v[143:144]
	ds_read_b128 v[141:144], v166 offset:4224
	v_fma_f64 v[129:130], v[129:130], v[145:146], -v[185:186]
	v_fma_f64 v[131:132], v[131:132], v[145:146], v[147:148]
	ds_read_b128 v[145:148], v166 offset:4752
	;; [unrolled: 3-line block ×3, first 2 shown]
	v_fma_f64 v[137:138], v[137:138], v[153:154], -v[193:194]
	v_fma_f64 v[139:140], v[139:140], v[153:154], v[155:156]
	s_waitcnt vmcnt(3)
	v_mul_f64 v[153:154], v[179:180], v[159:160]
	v_mul_f64 v[155:156], v[177:178], v[159:160]
	s_waitcnt vmcnt(2) lgkmcnt(2)
	v_mul_f64 v[159:160], v[143:144], v[122:123]
	v_mul_f64 v[122:123], v[141:142], v[122:123]
	s_waitcnt vmcnt(1) lgkmcnt(1)
	;; [unrolled: 3-line block ×3, first 2 shown]
	v_mul_f64 v[185:186], v[151:152], v[175:176]
	v_mul_f64 v[175:176], v[149:150], v[175:176]
	v_fma_f64 v[153:154], v[177:178], v[157:158], -v[153:154]
	v_fma_f64 v[155:156], v[179:180], v[157:158], v[155:156]
	v_fma_f64 v[141:142], v[141:142], v[120:121], -v[159:160]
	v_fma_f64 v[143:144], v[143:144], v[120:121], v[122:123]
	;; [unrolled: 2-line block ×4, first 2 shown]
	ds_write_b128 v166, v[181:184] offset:1584
	ds_write_b128 v166, v[129:132] offset:2112
	;; [unrolled: 1-line block ×8, first 2 shown]
	s_waitcnt lgkmcnt(0)
	s_barrier
	ds_read_b128 v[120:123], v166
	ds_read_b128 v[124:127], v166 offset:528
	ds_read_b128 v[129:132], v166 offset:1056
	;; [unrolled: 1-line block ×3, first 2 shown]
	s_waitcnt lgkmcnt(2)
	v_add_f64 v[137:138], v[120:121], v[124:125]
	v_add_f64 v[139:140], v[122:123], v[126:127]
	s_waitcnt lgkmcnt(1)
	v_add_f64 v[137:138], v[137:138], v[129:130]
	v_add_f64 v[139:140], v[139:140], v[131:132]
	;; [unrolled: 3-line block ×3, first 2 shown]
	ds_read_b128 v[137:140], v166 offset:2112
	ds_read_b128 v[141:144], v166 offset:2640
	s_waitcnt lgkmcnt(1)
	v_add_f64 v[145:146], v[145:146], v[137:138]
	v_add_f64 v[147:148], v[147:148], v[139:140]
	s_waitcnt lgkmcnt(0)
	v_add_f64 v[153:154], v[145:146], v[141:142]
	v_add_f64 v[155:156], v[147:148], v[143:144]
	ds_read_b128 v[145:148], v166 offset:3168
	ds_read_b128 v[149:152], v166 offset:3696
	;; [unrolled: 1-line block ×3, first 2 shown]
	s_waitcnt lgkmcnt(2)
	v_add_f64 v[157:158], v[153:154], v[145:146]
	v_add_f64 v[159:160], v[155:156], v[147:148]
	ds_read_b128 v[153:156], v166 offset:5280
	s_waitcnt lgkmcnt(1)
	v_add_f64 v[211:212], v[131:132], -v[175:176]
	v_add_f64 v[131:132], v[131:132], v[175:176]
	v_add_f64 v[215:216], v[129:130], v[173:174]
	v_add_f64 v[129:130], v[129:130], -v[173:174]
	s_waitcnt lgkmcnt(0)
	v_add_f64 v[179:180], v[126:127], -v[155:156]
	v_add_f64 v[126:127], v[126:127], v[155:156]
	v_add_f64 v[161:162], v[157:158], v[149:150]
	;; [unrolled: 1-line block ×4, first 2 shown]
	v_add_f64 v[124:125], v[124:125], -v[153:154]
	ds_read_b128 v[157:160], v166 offset:4224
	v_mul_f64 v[217:218], v[131:132], s[6:7]
	v_mul_f64 v[203:204], v[179:180], s[20:21]
	;; [unrolled: 1-line block ×4, first 2 shown]
	s_waitcnt lgkmcnt(0)
	v_add_f64 v[161:162], v[161:162], v[157:158]
	v_add_f64 v[177:178], v[177:178], v[159:160]
	v_mul_f64 v[185:186], v[126:127], s[16:17]
	v_mul_f64 v[191:192], v[179:180], s[4:5]
	;; [unrolled: 1-line block ×5, first 2 shown]
	v_fma_f64 v[207:208], v[181:182], s[22:23], v[203:204]
	v_fma_f64 v[209:210], v[124:125], s[0:1], v[205:206]
	v_fma_f64 v[203:204], v[181:182], s[22:23], -v[203:204]
	v_fma_f64 v[205:206], v[124:125], s[20:21], v[205:206]
	v_mul_f64 v[179:180], v[179:180], s[24:25]
	v_mul_f64 v[126:127], v[126:127], s[26:27]
	v_add_f64 v[161:162], v[161:162], v[173:174]
	v_add_f64 v[177:178], v[177:178], v[175:176]
	v_fma_f64 v[187:188], v[181:182], s[16:17], v[183:184]
	v_fma_f64 v[189:190], v[124:125], s[30:31], v[185:186]
	v_add_f64 v[175:176], v[120:121], v[203:204]
	v_add_f64 v[203:204], v[122:123], v[205:206]
	v_fma_f64 v[205:206], v[181:182], s[26:27], v[179:180]
	v_fma_f64 v[213:214], v[124:125], s[34:35], v[126:127]
	v_add_f64 v[153:154], v[161:162], v[153:154]
	v_add_f64 v[155:156], v[177:178], v[155:156]
	v_fma_f64 v[161:162], v[181:182], s[16:17], -v[183:184]
	v_add_f64 v[177:178], v[120:121], v[187:188]
	v_add_f64 v[183:184], v[122:123], v[189:190]
	v_fma_f64 v[185:186], v[124:125], s[18:19], v[185:186]
	v_fma_f64 v[187:188], v[181:182], s[6:7], v[191:192]
	;; [unrolled: 1-line block ×3, first 2 shown]
	v_fma_f64 v[191:192], v[181:182], s[6:7], -v[191:192]
	v_fma_f64 v[193:194], v[124:125], s[4:5], v[193:194]
	v_fma_f64 v[199:200], v[181:182], s[14:15], v[195:196]
	;; [unrolled: 1-line block ×3, first 2 shown]
	v_fma_f64 v[195:196], v[181:182], s[14:15], -v[195:196]
	v_fma_f64 v[197:198], v[124:125], s[12:13], v[197:198]
	v_mul_f64 v[173:174], v[211:212], s[4:5]
	v_fma_f64 v[179:180], v[181:182], s[26:27], -v[179:180]
	v_fma_f64 v[124:125], v[124:125], s[24:25], v[126:127]
	v_add_f64 v[126:127], v[120:121], v[205:206]
	v_add_f64 v[181:182], v[122:123], v[213:214]
	v_mul_f64 v[205:206], v[211:212], s[20:21]
	v_mul_f64 v[213:214], v[131:132], s[22:23]
	v_fma_f64 v[221:222], v[129:130], s[36:37], v[217:218]
	v_add_f64 v[161:162], v[120:121], v[161:162]
	v_add_f64 v[185:186], v[122:123], v[185:186]
	;; [unrolled: 1-line block ×12, first 2 shown]
	v_fma_f64 v[219:220], v[215:216], s[6:7], v[173:174]
	v_add_f64 v[120:121], v[120:121], v[179:180]
	v_add_f64 v[122:123], v[122:123], v[124:125]
	v_fma_f64 v[124:125], v[215:216], s[6:7], -v[173:174]
	v_fma_f64 v[173:174], v[129:130], s[4:5], v[217:218]
	v_fma_f64 v[179:180], v[215:216], s[22:23], v[205:206]
	;; [unrolled: 1-line block ×3, first 2 shown]
	v_add_f64 v[183:184], v[221:222], v[183:184]
	v_mul_f64 v[221:222], v[131:132], s[26:27]
	v_add_f64 v[177:178], v[219:220], v[177:178]
	v_mul_f64 v[219:220], v[211:212], s[34:35]
	v_add_f64 v[124:125], v[124:125], v[161:162]
	v_add_f64 v[161:162], v[173:174], v[185:186]
	;; [unrolled: 1-line block ×4, first 2 shown]
	v_fma_f64 v[185:186], v[215:216], s[22:23], -v[205:206]
	v_fma_f64 v[187:188], v[129:130], s[20:21], v[213:214]
	v_fma_f64 v[205:206], v[129:130], s[24:25], v[221:222]
	v_mul_f64 v[213:214], v[211:212], s[28:29]
	v_mul_f64 v[217:218], v[131:132], s[14:15]
	v_fma_f64 v[189:190], v[215:216], s[26:27], v[219:220]
	v_mul_f64 v[211:212], v[211:212], s[30:31]
	v_mul_f64 v[131:132], v[131:132], s[16:17]
	v_add_f64 v[185:186], v[185:186], v[191:192]
	v_add_f64 v[187:188], v[187:188], v[193:194]
	;; [unrolled: 1-line block ×3, first 2 shown]
	v_fma_f64 v[193:194], v[215:216], s[14:15], v[213:214]
	v_fma_f64 v[201:202], v[215:216], s[14:15], -v[213:214]
	v_fma_f64 v[205:206], v[129:130], s[28:29], v[217:218]
	v_add_f64 v[189:190], v[189:190], v[199:200]
	v_fma_f64 v[199:200], v[129:130], s[12:13], v[217:218]
	v_fma_f64 v[221:222], v[129:130], s[34:35], v[221:222]
	v_fma_f64 v[219:220], v[215:216], s[26:27], -v[219:220]
	v_add_f64 v[193:194], v[193:194], v[207:208]
	v_add_f64 v[207:208], v[135:136], -v[159:160]
	v_add_f64 v[135:136], v[135:136], v[159:160]
	v_add_f64 v[159:160], v[201:202], v[175:176]
	v_add_f64 v[175:176], v[205:206], v[203:204]
	v_fma_f64 v[201:202], v[215:216], s[16:17], v[211:212]
	v_fma_f64 v[203:204], v[129:130], s[18:19], v[131:132]
	v_add_f64 v[199:200], v[199:200], v[209:210]
	v_add_f64 v[205:206], v[133:134], v[157:158]
	v_add_f64 v[133:134], v[133:134], -v[157:158]
	v_mul_f64 v[157:158], v[207:208], s[12:13]
	v_mul_f64 v[209:210], v[135:136], s[14:15]
	v_fma_f64 v[211:212], v[215:216], s[16:17], -v[211:212]
	v_fma_f64 v[129:130], v[129:130], s[30:31], v[131:132]
	v_add_f64 v[126:127], v[201:202], v[126:127]
	v_add_f64 v[131:132], v[203:204], v[181:182]
	v_mul_f64 v[181:182], v[207:208], s[34:35]
	v_mul_f64 v[201:202], v[135:136], s[26:27]
	v_fma_f64 v[203:204], v[205:206], s[14:15], v[157:158]
	v_fma_f64 v[213:214], v[133:134], s[28:29], v[209:210]
	v_add_f64 v[120:121], v[211:212], v[120:121]
	v_add_f64 v[122:123], v[129:130], v[122:123]
	v_fma_f64 v[129:130], v[205:206], s[14:15], -v[157:158]
	v_fma_f64 v[157:158], v[133:134], s[12:13], v[209:210]
	v_fma_f64 v[209:210], v[205:206], s[26:27], v[181:182]
	;; [unrolled: 1-line block ×3, first 2 shown]
	v_add_f64 v[177:178], v[203:204], v[177:178]
	v_add_f64 v[183:184], v[213:214], v[183:184]
	v_mul_f64 v[203:204], v[207:208], s[36:37]
	v_mul_f64 v[213:214], v[135:136], s[6:7]
	v_add_f64 v[124:125], v[129:130], v[124:125]
	v_add_f64 v[129:130], v[157:158], v[161:162]
	;; [unrolled: 1-line block ×4, first 2 shown]
	v_fma_f64 v[179:180], v[133:134], s[34:35], v[201:202]
	v_mul_f64 v[209:210], v[207:208], s[18:19]
	v_add_f64 v[195:196], v[219:220], v[195:196]
	v_add_f64 v[197:198], v[221:222], v[197:198]
	v_fma_f64 v[173:174], v[205:206], s[26:27], -v[181:182]
	v_fma_f64 v[181:182], v[205:206], s[6:7], v[203:204]
	v_fma_f64 v[201:202], v[133:134], s[4:5], v[213:214]
	v_mul_f64 v[211:212], v[135:136], s[16:17]
	v_fma_f64 v[203:204], v[205:206], s[6:7], -v[203:204]
	v_fma_f64 v[213:214], v[133:134], s[36:37], v[213:214]
	v_add_f64 v[179:180], v[179:180], v[187:188]
	v_fma_f64 v[187:188], v[205:206], s[16:17], v[209:210]
	v_add_f64 v[173:174], v[173:174], v[185:186]
	v_add_f64 v[181:182], v[181:182], v[189:190]
	;; [unrolled: 1-line block ×3, first 2 shown]
	v_fma_f64 v[189:190], v[133:134], s[30:31], v[211:212]
	v_add_f64 v[191:192], v[203:204], v[195:196]
	v_add_f64 v[195:196], v[213:214], v[197:198]
	v_mul_f64 v[197:198], v[207:208], s[20:21]
	v_mul_f64 v[135:136], v[135:136], s[22:23]
	v_fma_f64 v[201:202], v[205:206], s[16:17], -v[209:210]
	v_fma_f64 v[203:204], v[133:134], s[18:19], v[211:212]
	v_add_f64 v[187:188], v[187:188], v[193:194]
	v_add_f64 v[193:194], v[139:140], -v[151:152]
	v_add_f64 v[139:140], v[139:140], v[151:152]
	v_add_f64 v[189:190], v[189:190], v[199:200]
	v_fma_f64 v[151:152], v[205:206], s[22:23], v[197:198]
	v_fma_f64 v[199:200], v[133:134], s[0:1], v[135:136]
	v_add_f64 v[159:160], v[201:202], v[159:160]
	v_add_f64 v[175:176], v[203:204], v[175:176]
	;; [unrolled: 1-line block ×3, first 2 shown]
	v_add_f64 v[137:138], v[137:138], -v[149:150]
	v_mul_f64 v[149:150], v[193:194], s[20:21]
	v_mul_f64 v[203:204], v[139:140], s[22:23]
	v_add_f64 v[126:127], v[151:152], v[126:127]
	v_add_f64 v[131:132], v[199:200], v[131:132]
	v_fma_f64 v[151:152], v[205:206], s[22:23], -v[197:198]
	v_fma_f64 v[133:134], v[133:134], s[20:21], v[135:136]
	v_mul_f64 v[135:136], v[193:194], s[28:29]
	v_mul_f64 v[197:198], v[139:140], s[14:15]
	v_fma_f64 v[199:200], v[201:202], s[22:23], v[149:150]
	v_fma_f64 v[205:206], v[137:138], s[0:1], v[203:204]
	v_fma_f64 v[149:150], v[201:202], s[22:23], -v[149:150]
	v_fma_f64 v[203:204], v[137:138], s[20:21], v[203:204]
	v_add_f64 v[120:121], v[151:152], v[120:121]
	v_add_f64 v[122:123], v[133:134], v[122:123]
	v_fma_f64 v[133:134], v[201:202], s[14:15], v[135:136]
	v_fma_f64 v[151:152], v[137:138], s[12:13], v[197:198]
	;; [unrolled: 1-line block ×3, first 2 shown]
	v_add_f64 v[177:178], v[199:200], v[177:178]
	v_add_f64 v[124:125], v[149:150], v[124:125]
	;; [unrolled: 1-line block ×3, first 2 shown]
	v_mul_f64 v[129:130], v[193:194], s[18:19]
	v_mul_f64 v[199:200], v[139:140], s[16:17]
	v_fma_f64 v[135:136], v[201:202], s[14:15], -v[135:136]
	v_add_f64 v[133:134], v[133:134], v[157:158]
	v_add_f64 v[151:152], v[151:152], v[161:162]
	v_mul_f64 v[157:158], v[193:194], s[24:25]
	v_mul_f64 v[161:162], v[139:140], s[26:27]
	v_add_f64 v[179:180], v[197:198], v[179:180]
	v_fma_f64 v[203:204], v[201:202], s[16:17], v[129:130]
	v_fma_f64 v[129:130], v[201:202], s[16:17], -v[129:130]
	v_add_f64 v[197:198], v[143:144], -v[147:148]
	v_add_f64 v[143:144], v[143:144], v[147:148]
	v_add_f64 v[183:184], v[205:206], v[183:184]
	v_fma_f64 v[205:206], v[137:138], s[30:31], v[199:200]
	v_fma_f64 v[199:200], v[137:138], s[18:19], v[199:200]
	v_add_f64 v[173:174], v[135:136], v[173:174]
	v_mul_f64 v[135:136], v[139:140], s[6:7]
	v_add_f64 v[191:192], v[129:130], v[191:192]
	v_mul_f64 v[129:130], v[193:194], s[36:37]
	v_fma_f64 v[207:208], v[201:202], s[26:27], v[157:158]
	v_fma_f64 v[209:210], v[137:138], s[34:35], v[161:162]
	v_fma_f64 v[139:140], v[201:202], s[26:27], -v[157:158]
	v_fma_f64 v[147:148], v[137:138], s[24:25], v[161:162]
	v_add_f64 v[157:158], v[141:142], v[145:146]
	v_add_f64 v[145:146], v[141:142], -v[145:146]
	v_mul_f64 v[141:142], v[197:198], s[24:25]
	v_mul_f64 v[161:162], v[143:144], s[26:27]
	v_fma_f64 v[193:194], v[201:202], s[6:7], v[129:130]
	v_add_f64 v[195:196], v[199:200], v[195:196]
	v_fma_f64 v[199:200], v[137:138], s[4:5], v[135:136]
	v_fma_f64 v[129:130], v[201:202], s[6:7], -v[129:130]
	v_fma_f64 v[135:136], v[137:138], s[36:37], v[135:136]
	v_add_f64 v[159:160], v[139:140], v[159:160]
	v_add_f64 v[175:176], v[147:148], v[175:176]
	v_fma_f64 v[137:138], v[157:158], s[26:27], v[141:142]
	v_fma_f64 v[139:140], v[145:146], s[34:35], v[161:162]
	v_add_f64 v[193:194], v[193:194], v[126:127]
	v_mul_f64 v[126:127], v[197:198], s[30:31]
	v_mul_f64 v[147:148], v[143:144], s[16:17]
	v_add_f64 v[181:182], v[203:204], v[181:182]
	v_add_f64 v[201:202], v[129:130], v[120:121]
	;; [unrolled: 1-line block ×3, first 2 shown]
	v_fma_f64 v[120:121], v[157:158], s[26:27], -v[141:142]
	v_fma_f64 v[122:123], v[145:146], s[24:25], v[161:162]
	v_mul_f64 v[141:142], v[143:144], s[22:23]
	v_add_f64 v[199:200], v[199:200], v[131:132]
	v_add_f64 v[129:130], v[137:138], v[177:178]
	;; [unrolled: 1-line block ×3, first 2 shown]
	v_fma_f64 v[135:136], v[157:158], s[16:17], v[126:127]
	v_fma_f64 v[137:138], v[145:146], s[18:19], v[147:148]
	v_mul_f64 v[139:140], v[197:198], s[20:21]
	v_fma_f64 v[161:162], v[157:158], s[16:17], -v[126:127]
	v_fma_f64 v[147:148], v[145:146], s[30:31], v[147:148]
	v_add_f64 v[185:186], v[205:206], v[185:186]
	v_add_f64 v[126:127], v[122:123], v[149:150]
	v_fma_f64 v[149:150], v[145:146], s[0:1], v[141:142]
	v_add_f64 v[124:125], v[120:121], v[124:125]
	v_add_f64 v[133:134], v[135:136], v[133:134]
	;; [unrolled: 1-line block ×5, first 2 shown]
	v_fma_f64 v[147:148], v[157:158], s[22:23], -v[139:140]
	v_fma_f64 v[151:152], v[145:146], s[20:21], v[141:142]
	v_mul_f64 v[161:162], v[197:198], s[36:37]
	v_mul_f64 v[173:174], v[143:144], s[6:7]
	v_fma_f64 v[137:138], v[157:158], s[22:23], v[139:140]
	v_add_f64 v[139:140], v[149:150], v[185:186]
	v_mul_f64 v[149:150], v[197:198], s[12:13]
	v_mul_f64 v[177:178], v[143:144], s[14:15]
	v_add_f64 v[187:188], v[207:208], v[187:188]
	v_add_f64 v[189:190], v[209:210], v[189:190]
	;; [unrolled: 1-line block ×4, first 2 shown]
	v_fma_f64 v[147:148], v[157:158], s[6:7], v[161:162]
	v_fma_f64 v[151:152], v[145:146], s[4:5], v[173:174]
	v_add_f64 v[137:138], v[137:138], v[181:182]
	v_fma_f64 v[161:162], v[157:158], s[6:7], -v[161:162]
	v_fma_f64 v[179:180], v[157:158], s[14:15], v[149:150]
	v_fma_f64 v[181:182], v[145:146], s[28:29], v[177:178]
	;; [unrolled: 1-line block ×3, first 2 shown]
	v_fma_f64 v[183:184], v[157:158], s[14:15], -v[149:150]
	v_fma_f64 v[177:178], v[145:146], s[12:13], v[177:178]
	v_add_f64 v[145:146], v[147:148], v[187:188]
	v_add_f64 v[147:148], v[151:152], v[189:190]
	;; [unrolled: 1-line block ×8, first 2 shown]
	s_barrier
	ds_write_b128 v128, v[153:156]
	ds_write_b128 v128, v[129:132] offset:16
	ds_write_b128 v128, v[133:136] offset:32
	;; [unrolled: 1-line block ×10, first 2 shown]
	s_waitcnt lgkmcnt(0)
	s_barrier
	ds_read_b128 v[136:139], v166
	ds_read_b128 v[132:135], v166 offset:528
	ds_read_b128 v[156:159], v166 offset:3872
	;; [unrolled: 1-line block ×8, first 2 shown]
	s_and_saveexec_b64 s[0:1], vcc
	s_cbranch_execz .LBB0_7
; %bb.6:
	ds_read_b128 v[120:123], v166 offset:1584
	ds_read_b128 v[124:127], v166 offset:3520
	;; [unrolled: 1-line block ×3, first 2 shown]
.LBB0_7:
	s_or_b64 exec, exec, s[0:1]
	s_waitcnt lgkmcnt(4)
	v_mul_f64 v[173:174], v[82:83], v[162:163]
	v_mul_f64 v[175:176], v[78:79], v[158:159]
	;; [unrolled: 1-line block ×4, first 2 shown]
	s_waitcnt lgkmcnt(2)
	v_mul_f64 v[177:178], v[58:59], v[154:155]
	v_mul_f64 v[179:180], v[54:55], v[146:147]
	;; [unrolled: 1-line block ×4, first 2 shown]
	v_fma_f64 v[160:161], v[80:81], v[160:161], v[173:174]
	v_fma_f64 v[156:157], v[76:77], v[156:157], v[175:176]
	s_waitcnt lgkmcnt(1)
	v_mul_f64 v[173:174], v[66:67], v[150:151]
	v_mul_f64 v[66:67], v[66:67], v[148:149]
	s_waitcnt lgkmcnt(0)
	v_mul_f64 v[175:176], v[62:63], v[142:143]
	v_mul_f64 v[62:63], v[62:63], v[140:141]
	v_fma_f64 v[80:81], v[80:81], v[162:163], -v[82:83]
	v_fma_f64 v[76:77], v[76:77], v[158:159], -v[78:79]
	v_fma_f64 v[82:83], v[56:57], v[152:153], v[177:178]
	v_add_f64 v[78:79], v[160:161], v[156:157]
	v_fma_f64 v[144:145], v[52:53], v[144:145], v[179:180]
	v_fma_f64 v[152:153], v[56:57], v[154:155], -v[58:59]
	v_fma_f64 v[146:147], v[52:53], v[146:147], -v[54:55]
	v_add_f64 v[52:53], v[136:137], v[160:161]
	v_fma_f64 v[148:149], v[64:65], v[148:149], v[173:174]
	v_fma_f64 v[66:67], v[64:65], v[150:151], -v[66:67]
	v_add_f64 v[64:65], v[80:81], v[76:77]
	v_fma_f64 v[54:55], v[78:79], -0.5, v[136:137]
	v_fma_f64 v[136:137], v[60:61], v[140:141], v[175:176]
	v_fma_f64 v[140:141], v[60:61], v[142:143], -v[62:63]
	v_add_f64 v[60:61], v[82:83], v[144:145]
	v_add_f64 v[58:59], v[80:81], -v[76:77]
	v_add_f64 v[62:63], v[138:139], v[80:81]
	v_add_f64 v[78:79], v[160:161], -v[156:157]
	v_fma_f64 v[64:65], v[64:65], -0.5, v[138:139]
	v_add_f64 v[80:81], v[132:133], v[82:83]
	v_add_f64 v[138:139], v[152:153], -v[146:147]
	v_add_f64 v[142:143], v[152:153], v[146:147]
	v_fma_f64 v[132:133], v[60:61], -0.5, v[132:133]
	s_mov_b32 s0, 0xe8584caa
	s_mov_b32 s1, 0xbfebb67a
	;; [unrolled: 1-line block ×4, first 2 shown]
	v_fma_f64 v[56:57], v[58:59], s[0:1], v[54:55]
	v_fma_f64 v[60:61], v[58:59], s[4:5], v[54:55]
	v_add_f64 v[54:55], v[62:63], v[76:77]
	v_fma_f64 v[58:59], v[78:79], s[4:5], v[64:65]
	v_fma_f64 v[62:63], v[78:79], s[0:1], v[64:65]
	v_add_f64 v[64:65], v[80:81], v[144:145]
	v_add_f64 v[78:79], v[148:149], v[136:137]
	v_fma_f64 v[76:77], v[138:139], s[0:1], v[132:133]
	v_fma_f64 v[80:81], v[138:139], s[4:5], v[132:133]
	v_add_f64 v[132:133], v[66:67], v[140:141]
	v_add_f64 v[138:139], v[134:135], v[152:153]
	v_fma_f64 v[134:135], v[142:143], -0.5, v[134:135]
	v_add_f64 v[82:83], v[82:83], -v[144:145]
	v_add_f64 v[142:143], v[128:129], v[148:149]
	v_add_f64 v[152:153], v[130:131], v[66:67]
	v_fma_f64 v[144:145], v[78:79], -0.5, v[128:129]
	v_add_f64 v[150:151], v[66:67], -v[140:141]
	v_fma_f64 v[154:155], v[132:133], -0.5, v[130:131]
	v_add_f64 v[148:149], v[148:149], -v[136:137]
	v_add_f64 v[52:53], v[52:53], v[156:157]
	v_add_f64 v[66:67], v[138:139], v[146:147]
	v_fma_f64 v[78:79], v[82:83], s[4:5], v[134:135]
	v_fma_f64 v[82:83], v[82:83], s[0:1], v[134:135]
	v_add_f64 v[128:129], v[142:143], v[136:137]
	v_add_f64 v[130:131], v[152:153], v[140:141]
	v_fma_f64 v[132:133], v[150:151], s[0:1], v[144:145]
	v_fma_f64 v[134:135], v[148:149], s[4:5], v[154:155]
	;; [unrolled: 1-line block ×4, first 2 shown]
	s_barrier
	ds_write_b128 v170, v[52:55]
	ds_write_b128 v170, v[56:59] offset:176
	ds_write_b128 v170, v[60:63] offset:352
	ds_write_b128 v171, v[64:67]
	ds_write_b128 v171, v[76:79] offset:176
	ds_write_b128 v171, v[80:83] offset:352
	;; [unrolled: 3-line block ×3, first 2 shown]
	s_and_saveexec_b64 s[6:7], vcc
	s_cbranch_execz .LBB0_9
; %bb.8:
	v_mul_f64 v[52:53], v[50:51], v[124:125]
	v_mul_f64 v[54:55], v[46:47], v[92:93]
	v_mul_f64 v[50:51], v[50:51], v[126:127]
	v_mul_f64 v[46:47], v[46:47], v[94:95]
	v_fma_f64 v[52:53], v[48:49], v[126:127], -v[52:53]
	v_fma_f64 v[54:55], v[44:45], v[94:95], -v[54:55]
	v_fma_f64 v[48:49], v[48:49], v[124:125], v[50:51]
	v_fma_f64 v[44:45], v[44:45], v[92:93], v[46:47]
	v_add_f64 v[58:59], v[122:123], v[52:53]
	v_add_f64 v[46:47], v[52:53], v[54:55]
	v_add_f64 v[62:63], v[52:53], -v[54:55]
	v_add_f64 v[50:51], v[48:49], v[44:45]
	v_add_f64 v[56:57], v[48:49], -v[44:45]
	v_add_f64 v[48:49], v[120:121], v[48:49]
	v_fma_f64 v[60:61], v[46:47], -0.5, v[122:123]
	v_add_f64 v[46:47], v[58:59], v[54:55]
	v_fma_f64 v[64:65], v[50:51], -0.5, v[120:121]
	v_add_f64 v[44:45], v[48:49], v[44:45]
	v_fma_f64 v[54:55], v[56:57], s[4:5], v[60:61]
	v_fma_f64 v[50:51], v[56:57], s[0:1], v[60:61]
	;; [unrolled: 1-line block ×4, first 2 shown]
	v_mul_u32_u24_e32 v56, 33, v168
	v_add_u32_sdwa v56, v56, v169 dst_sel:DWORD dst_unused:UNUSED_PAD src0_sel:DWORD src1_sel:BYTE_0
	v_lshl_add_u32 v56, v56, 4, v167
	ds_write_b128 v56, v[44:47]
	ds_write_b128 v56, v[52:55] offset:176
	ds_write_b128 v56, v[48:51] offset:352
.LBB0_9:
	s_or_b64 exec, exec, s[6:7]
	s_waitcnt lgkmcnt(0)
	s_barrier
	ds_read_b128 v[44:47], v166 offset:528
	ds_read_b128 v[52:55], v166 offset:1584
	ds_read_b128 v[48:51], v166 offset:1056
	s_mov_b32 s12, 0xf8bb580b
	s_mov_b32 s13, 0xbfe14ced
	s_waitcnt lgkmcnt(2)
	v_mul_f64 v[56:57], v[118:119], v[46:47]
	v_mul_f64 v[58:59], v[118:119], v[44:45]
	s_waitcnt lgkmcnt(1)
	v_mul_f64 v[64:65], v[90:91], v[54:55]
	v_mul_f64 v[66:67], v[90:91], v[52:53]
	s_mov_b32 s6, 0x8764f0ba
	s_mov_b32 s0, 0x8eee2c13
	;; [unrolled: 1-line block ×4, first 2 shown]
	v_fma_f64 v[76:77], v[116:117], v[44:45], v[56:57]
	v_fma_f64 v[78:79], v[116:117], v[46:47], -v[58:59]
	ds_read_b128 v[56:59], v166
	s_waitcnt lgkmcnt(1)
	v_mul_f64 v[60:61], v[110:111], v[50:51]
	v_mul_f64 v[62:63], v[110:111], v[48:49]
	ds_read_b128 v[44:47], v166 offset:2112
	v_fma_f64 v[92:93], v[88:89], v[52:53], v[64:65]
	v_fma_f64 v[88:89], v[88:89], v[54:55], -v[66:67]
	s_mov_b32 s20, 0x640f44db
	s_mov_b32 s24, 0xbb3a28a1
	;; [unrolled: 1-line block ×3, first 2 shown]
	v_fma_f64 v[80:81], v[108:109], v[48:49], v[60:61]
	v_fma_f64 v[82:83], v[108:109], v[50:51], -v[62:63]
	ds_read_b128 v[48:51], v166 offset:2640
	s_waitcnt lgkmcnt(2)
	v_add_f64 v[60:61], v[56:57], v[76:77]
	v_add_f64 v[62:63], v[58:59], v[78:79]
	s_waitcnt lgkmcnt(1)
	v_mul_f64 v[90:91], v[74:75], v[46:47]
	v_mul_f64 v[74:75], v[74:75], v[44:45]
	s_waitcnt lgkmcnt(0)
	v_mul_f64 v[94:95], v[114:115], v[50:51]
	v_mul_f64 v[108:109], v[114:115], v[48:49]
	s_mov_b32 s30, 0xfd768dbf
	s_mov_b32 s34, 0x9bcd5057
	v_add_f64 v[64:65], v[60:61], v[80:81]
	v_add_f64 v[66:67], v[62:63], v[82:83]
	v_fma_f64 v[90:91], v[72:73], v[44:45], v[90:91]
	v_fma_f64 v[110:111], v[72:73], v[46:47], -v[74:75]
	ds_read_b128 v[52:55], v166 offset:3168
	ds_read_b128 v[60:63], v166 offset:3696
	v_fma_f64 v[48:49], v[112:113], v[48:49], v[94:95]
	v_fma_f64 v[50:51], v[112:113], v[50:51], -v[108:109]
	s_mov_b32 s7, 0x3feaeb8c
	v_add_f64 v[114:115], v[64:65], v[92:93]
	v_add_f64 v[116:117], v[66:67], v[88:89]
	s_waitcnt lgkmcnt(1)
	v_mul_f64 v[118:119], v[98:99], v[54:55]
	v_mul_f64 v[98:99], v[98:99], v[52:53]
	ds_read_b128 v[44:47], v166 offset:4224
	ds_read_b128 v[64:67], v166 offset:4752
	;; [unrolled: 1-line block ×3, first 2 shown]
	s_waitcnt lgkmcnt(3)
	v_mul_f64 v[112:113], v[86:87], v[62:63]
	v_mul_f64 v[86:87], v[86:87], v[60:61]
	s_mov_b32 s1, 0xbfed1bb4
	v_add_f64 v[94:95], v[114:115], v[90:91]
	v_add_f64 v[108:109], v[116:117], v[110:111]
	v_fma_f64 v[52:53], v[96:97], v[52:53], v[118:119]
	v_fma_f64 v[54:55], v[96:97], v[54:55], -v[98:99]
	s_waitcnt lgkmcnt(0)
	v_mul_f64 v[98:99], v[106:107], v[72:73]
	v_fma_f64 v[60:61], v[84:85], v[60:61], v[112:113]
	v_fma_f64 v[62:63], v[84:85], v[62:63], -v[86:87]
	s_mov_b32 s5, 0x3fda9628
	v_add_f64 v[94:95], v[94:95], v[48:49]
	v_add_f64 v[96:97], v[108:109], v[50:51]
	v_mul_f64 v[108:109], v[70:71], v[46:47]
	v_mul_f64 v[70:71], v[70:71], v[44:45]
	s_mov_b32 s17, 0xbfefac9e
	s_mov_b32 s21, 0xbfc2375f
	;; [unrolled: 1-line block ×4, first 2 shown]
	v_add_f64 v[84:85], v[94:95], v[52:53]
	v_add_f64 v[86:87], v[96:97], v[54:55]
	v_mul_f64 v[94:95], v[106:107], v[74:75]
	v_fma_f64 v[74:75], v[104:105], v[74:75], -v[98:99]
	v_mul_f64 v[96:97], v[102:103], v[66:67]
	v_mul_f64 v[98:99], v[102:103], v[64:65]
	v_fma_f64 v[102:103], v[68:69], v[44:45], v[108:109]
	v_fma_f64 v[68:69], v[68:69], v[46:47], -v[70:71]
	v_add_f64 v[44:45], v[84:85], v[60:61]
	v_add_f64 v[46:47], v[86:87], v[62:63]
	v_fma_f64 v[70:71], v[104:105], v[72:73], v[94:95]
	v_add_f64 v[72:73], v[78:79], -v[74:75]
	v_fma_f64 v[64:65], v[100:101], v[64:65], v[96:97]
	v_fma_f64 v[66:67], v[100:101], v[66:67], -v[98:99]
	v_add_f64 v[78:79], v[78:79], v[74:75]
	s_mov_b32 s31, 0xbfd207e7
	v_add_f64 v[44:45], v[44:45], v[102:103]
	v_add_f64 v[46:47], v[46:47], v[68:69]
	;; [unrolled: 1-line block ×3, first 2 shown]
	v_mul_f64 v[86:87], v[72:73], s[12:13]
	s_mov_b32 s35, 0xbfeeb42a
	v_add_f64 v[76:77], v[76:77], -v[70:71]
	v_mul_f64 v[94:95], v[78:79], s[6:7]
	v_mul_f64 v[98:99], v[72:73], s[0:1]
	v_add_f64 v[44:45], v[44:45], v[64:65]
	v_add_f64 v[46:47], v[46:47], v[66:67]
	v_mul_f64 v[100:101], v[78:79], s[4:5]
	v_fma_f64 v[96:97], v[84:85], s[6:7], v[86:87]
	v_mul_f64 v[106:107], v[72:73], s[16:17]
	v_mul_f64 v[112:113], v[78:79], s[20:21]
	;; [unrolled: 1-line block ×6, first 2 shown]
	v_add_f64 v[124:125], v[82:83], -v[66:67]
	v_add_f64 v[66:67], v[82:83], v[66:67]
	s_mov_b32 s19, 0x3fe14ced
	s_mov_b32 s18, s12
	;; [unrolled: 1-line block ×10, first 2 shown]
	v_fma_f64 v[104:105], v[76:77], s[18:19], v[94:95]
	v_add_f64 v[44:45], v[44:45], v[70:71]
	v_add_f64 v[46:47], v[46:47], v[74:75]
	v_fma_f64 v[70:71], v[84:85], s[6:7], -v[86:87]
	v_add_f64 v[74:75], v[56:57], v[96:97]
	v_fma_f64 v[86:87], v[76:77], s[12:13], v[94:95]
	v_fma_f64 v[94:95], v[84:85], s[4:5], v[98:99]
	v_fma_f64 v[96:97], v[76:77], s[14:15], v[100:101]
	v_fma_f64 v[98:99], v[84:85], s[4:5], -v[98:99]
	v_fma_f64 v[100:101], v[76:77], s[0:1], v[100:101]
	v_fma_f64 v[108:109], v[84:85], s[20:21], v[106:107]
	v_fma_f64 v[118:119], v[76:77], s[22:23], v[112:113]
	v_fma_f64 v[106:107], v[84:85], s[20:21], -v[106:107]
	;; [unrolled: 4-line block ×3, first 2 shown]
	v_fma_f64 v[116:117], v[76:77], s[24:25], v[116:117]
	v_fma_f64 v[82:83], v[84:85], s[34:35], v[72:73]
	;; [unrolled: 1-line block ×3, first 2 shown]
	v_add_f64 v[128:129], v[80:81], v[64:65]
	v_add_f64 v[64:65], v[80:81], -v[64:65]
	v_mul_f64 v[80:81], v[124:125], s[0:1]
	v_mul_f64 v[130:131], v[66:67], s[4:5]
	v_fma_f64 v[72:73], v[84:85], s[34:35], -v[72:73]
	v_fma_f64 v[76:77], v[76:77], s[30:31], v[78:79]
	v_add_f64 v[104:105], v[58:59], v[104:105]
	v_add_f64 v[70:71], v[56:57], v[70:71]
	v_add_f64 v[86:87], v[58:59], v[86:87]
	v_add_f64 v[94:95], v[56:57], v[94:95]
	v_add_f64 v[96:97], v[58:59], v[96:97]
	v_add_f64 v[98:99], v[56:57], v[98:99]
	v_add_f64 v[100:101], v[58:59], v[100:101]
	v_add_f64 v[108:109], v[56:57], v[108:109]
	v_add_f64 v[118:119], v[58:59], v[118:119]
	v_add_f64 v[106:107], v[56:57], v[106:107]
	v_add_f64 v[112:113], v[58:59], v[112:113]
	v_add_f64 v[120:121], v[56:57], v[120:121]
	v_add_f64 v[122:123], v[58:59], v[122:123]
	v_add_f64 v[114:115], v[56:57], v[114:115]
	v_add_f64 v[116:117], v[58:59], v[116:117]
	v_add_f64 v[78:79], v[56:57], v[82:83]
	v_add_f64 v[82:83], v[58:59], v[126:127]
	v_mul_f64 v[84:85], v[124:125], s[24:25]
	v_mul_f64 v[126:127], v[66:67], s[26:27]
	v_fma_f64 v[132:133], v[128:129], s[4:5], v[80:81]
	v_fma_f64 v[134:135], v[64:65], s[14:15], v[130:131]
	v_add_f64 v[56:57], v[56:57], v[72:73]
	v_add_f64 v[58:59], v[58:59], v[76:77]
	v_fma_f64 v[72:73], v[128:129], s[4:5], -v[80:81]
	v_fma_f64 v[76:77], v[64:65], s[0:1], v[130:131]
	v_fma_f64 v[80:81], v[128:129], s[26:27], v[84:85]
	v_fma_f64 v[130:131], v[64:65], s[28:29], v[126:127]
	v_add_f64 v[74:75], v[132:133], v[74:75]
	v_add_f64 v[104:105], v[134:135], v[104:105]
	v_mul_f64 v[132:133], v[124:125], s[36:37]
	v_mul_f64 v[134:135], v[66:67], s[34:35]
	v_add_f64 v[70:71], v[72:73], v[70:71]
	v_add_f64 v[72:73], v[76:77], v[86:87]
	v_fma_f64 v[84:85], v[128:129], s[26:27], -v[84:85]
	v_fma_f64 v[86:87], v[64:65], s[24:25], v[126:127]
	v_mul_f64 v[126:127], v[124:125], s[22:23]
	v_add_f64 v[76:77], v[80:81], v[94:95]
	v_add_f64 v[80:81], v[130:131], v[96:97]
	v_fma_f64 v[94:95], v[128:129], s[34:35], v[132:133]
	v_fma_f64 v[96:97], v[64:65], s[30:31], v[134:135]
	v_mul_f64 v[130:131], v[66:67], s[20:21]
	v_fma_f64 v[134:135], v[64:65], s[36:37], v[134:135]
	v_add_f64 v[84:85], v[84:85], v[98:99]
	v_fma_f64 v[98:99], v[128:129], s[20:21], v[126:127]
	v_mul_f64 v[124:125], v[124:125], s[18:19]
	v_mul_f64 v[66:67], v[66:67], s[6:7]
	v_add_f64 v[94:95], v[94:95], v[108:109]
	v_add_f64 v[96:97], v[96:97], v[118:119]
	v_fma_f64 v[118:119], v[64:65], s[22:23], v[130:131]
	v_add_f64 v[108:109], v[134:135], v[112:113]
	v_fma_f64 v[112:113], v[128:129], s[20:21], -v[126:127]
	v_add_f64 v[98:99], v[98:99], v[120:121]
	v_add_f64 v[120:121], v[88:89], -v[68:69]
	v_add_f64 v[86:87], v[86:87], v[100:101]
	v_fma_f64 v[100:101], v[64:65], s[16:17], v[130:131]
	v_add_f64 v[68:69], v[88:89], v[68:69]
	v_fma_f64 v[132:133], v[128:129], s[34:35], -v[132:133]
	v_add_f64 v[88:89], v[112:113], v[114:115]
	v_add_f64 v[112:113], v[118:119], v[116:117]
	v_fma_f64 v[114:115], v[128:129], s[6:7], v[124:125]
	v_fma_f64 v[116:117], v[64:65], s[12:13], v[66:67]
	v_add_f64 v[118:119], v[92:93], v[102:103]
	v_add_f64 v[92:93], v[92:93], -v[102:103]
	v_mul_f64 v[102:103], v[120:121], s[16:17]
	v_add_f64 v[100:101], v[100:101], v[122:123]
	v_mul_f64 v[122:123], v[68:69], s[20:21]
	v_fma_f64 v[124:125], v[128:129], s[6:7], -v[124:125]
	v_fma_f64 v[64:65], v[64:65], s[18:19], v[66:67]
	v_add_f64 v[66:67], v[114:115], v[78:79]
	v_add_f64 v[78:79], v[116:117], v[82:83]
	v_mul_f64 v[82:83], v[120:121], s[36:37]
	v_mul_f64 v[114:115], v[68:69], s[34:35]
	v_fma_f64 v[116:117], v[118:119], s[20:21], v[102:103]
	v_fma_f64 v[126:127], v[92:93], s[22:23], v[122:123]
	v_add_f64 v[56:57], v[124:125], v[56:57]
	v_add_f64 v[58:59], v[64:65], v[58:59]
	v_fma_f64 v[64:65], v[118:119], s[20:21], -v[102:103]
	v_fma_f64 v[102:103], v[92:93], s[16:17], v[122:123]
	v_fma_f64 v[122:123], v[118:119], s[34:35], v[82:83]
	;; [unrolled: 1-line block ×3, first 2 shown]
	v_add_f64 v[74:75], v[116:117], v[74:75]
	v_mul_f64 v[116:117], v[120:121], s[14:15]
	v_add_f64 v[104:105], v[126:127], v[104:105]
	v_mul_f64 v[126:127], v[68:69], s[4:5]
	v_add_f64 v[64:65], v[64:65], v[70:71]
	v_add_f64 v[70:71], v[102:103], v[72:73]
	;; [unrolled: 1-line block ×4, first 2 shown]
	v_fma_f64 v[80:81], v[118:119], s[34:35], -v[82:83]
	v_fma_f64 v[102:103], v[118:119], s[4:5], v[116:117]
	v_mul_f64 v[122:123], v[120:121], s[12:13]
	v_fma_f64 v[82:83], v[92:93], s[36:37], v[114:115]
	v_fma_f64 v[114:115], v[92:93], s[0:1], v[126:127]
	v_add_f64 v[106:107], v[132:133], v[106:107]
	v_mul_f64 v[124:125], v[68:69], s[6:7]
	v_fma_f64 v[116:117], v[118:119], s[4:5], -v[116:117]
	v_add_f64 v[80:81], v[80:81], v[84:85]
	v_add_f64 v[84:85], v[102:103], v[94:95]
	v_fma_f64 v[94:95], v[118:119], s[6:7], v[122:123]
	v_fma_f64 v[126:127], v[92:93], s[14:15], v[126:127]
	v_add_f64 v[82:83], v[82:83], v[86:87]
	v_add_f64 v[86:87], v[114:115], v[96:97]
	v_mul_f64 v[68:69], v[68:69], s[26:27]
	v_fma_f64 v[114:115], v[118:119], s[6:7], -v[122:123]
	v_fma_f64 v[96:97], v[92:93], s[18:19], v[124:125]
	v_add_f64 v[102:103], v[116:117], v[106:107]
	v_add_f64 v[94:95], v[94:95], v[98:99]
	v_add_f64 v[98:99], v[110:111], -v[62:63]
	v_add_f64 v[106:107], v[126:127], v[108:109]
	v_mul_f64 v[108:109], v[120:121], s[24:25]
	v_fma_f64 v[116:117], v[92:93], s[12:13], v[124:125]
	v_add_f64 v[62:63], v[110:111], v[62:63]
	v_fma_f64 v[110:111], v[92:93], s[28:29], v[68:69]
	v_add_f64 v[88:89], v[114:115], v[88:89]
	v_add_f64 v[114:115], v[90:91], v[60:61]
	v_add_f64 v[60:61], v[90:91], -v[60:61]
	v_mul_f64 v[90:91], v[98:99], s[24:25]
	v_add_f64 v[96:97], v[96:97], v[100:101]
	v_fma_f64 v[100:101], v[118:119], s[26:27], v[108:109]
	v_add_f64 v[112:113], v[116:117], v[112:113]
	v_mul_f64 v[116:117], v[62:63], s[26:27]
	v_add_f64 v[78:79], v[110:111], v[78:79]
	v_fma_f64 v[68:69], v[92:93], s[24:25], v[68:69]
	v_mul_f64 v[92:93], v[98:99], s[22:23]
	v_fma_f64 v[110:111], v[114:115], s[26:27], v[90:91]
	v_fma_f64 v[90:91], v[114:115], s[26:27], -v[90:91]
	v_add_f64 v[66:67], v[100:101], v[66:67]
	v_fma_f64 v[100:101], v[118:119], s[26:27], -v[108:109]
	v_mul_f64 v[108:109], v[62:63], s[20:21]
	v_fma_f64 v[118:119], v[60:61], s[28:29], v[116:117]
	v_fma_f64 v[116:117], v[60:61], s[24:25], v[116:117]
	v_add_f64 v[58:59], v[68:69], v[58:59]
	v_add_f64 v[74:75], v[110:111], v[74:75]
	;; [unrolled: 1-line block ×3, first 2 shown]
	v_mul_f64 v[90:91], v[98:99], s[12:13]
	v_mul_f64 v[110:111], v[62:63], s[6:7]
	v_add_f64 v[56:57], v[100:101], v[56:57]
	v_fma_f64 v[68:69], v[114:115], s[20:21], v[92:93]
	v_fma_f64 v[100:101], v[60:61], s[16:17], v[108:109]
	v_add_f64 v[104:105], v[118:119], v[104:105]
	v_add_f64 v[70:71], v[116:117], v[70:71]
	v_fma_f64 v[92:93], v[114:115], s[20:21], -v[92:93]
	v_fma_f64 v[116:117], v[114:115], s[6:7], v[90:91]
	v_fma_f64 v[118:119], v[60:61], s[18:19], v[110:111]
	v_fma_f64 v[90:91], v[114:115], s[6:7], -v[90:91]
	v_fma_f64 v[110:111], v[60:61], s[12:13], v[110:111]
	v_add_f64 v[68:69], v[68:69], v[72:73]
	v_add_f64 v[72:73], v[100:101], v[76:77]
	v_mul_f64 v[76:77], v[98:99], s[30:31]
	v_mul_f64 v[100:101], v[62:63], s[34:35]
	v_add_f64 v[80:81], v[92:93], v[80:81]
	v_fma_f64 v[108:109], v[60:61], s[22:23], v[108:109]
	v_add_f64 v[90:91], v[90:91], v[102:103]
	v_add_f64 v[92:93], v[110:111], v[106:107]
	v_add_f64 v[102:103], v[50:51], -v[54:55]
	v_add_f64 v[106:107], v[50:51], v[54:55]
	v_mul_f64 v[50:51], v[98:99], s[14:15]
	v_fma_f64 v[120:121], v[114:115], s[34:35], v[76:77]
	v_fma_f64 v[122:123], v[60:61], s[36:37], v[100:101]
	v_mul_f64 v[54:55], v[62:63], s[4:5]
	v_fma_f64 v[62:63], v[114:115], s[34:35], -v[76:77]
	v_fma_f64 v[76:77], v[60:61], s[30:31], v[100:101]
	v_add_f64 v[98:99], v[48:49], v[52:53]
	v_add_f64 v[100:101], v[48:49], -v[52:53]
	v_mul_f64 v[52:53], v[102:103], s[30:31]
	v_fma_f64 v[48:49], v[114:115], s[4:5], v[50:51]
	v_add_f64 v[82:83], v[108:109], v[82:83]
	v_mul_f64 v[108:109], v[106:107], s[34:35]
	v_fma_f64 v[110:111], v[60:61], s[0:1], v[54:55]
	v_add_f64 v[112:113], v[76:77], v[112:113]
	v_fma_f64 v[50:51], v[114:115], s[4:5], -v[50:51]
	v_fma_f64 v[54:55], v[60:61], s[14:15], v[54:55]
	v_fma_f64 v[60:61], v[98:99], s[34:35], v[52:53]
	v_add_f64 v[114:115], v[48:49], v[66:67]
	v_mul_f64 v[66:67], v[102:103], s[18:19]
	v_mul_f64 v[76:77], v[106:107], s[6:7]
	v_add_f64 v[88:89], v[62:63], v[88:89]
	v_fma_f64 v[62:63], v[100:101], s[36:37], v[108:109]
	v_add_f64 v[84:85], v[116:117], v[84:85]
	v_add_f64 v[78:79], v[110:111], v[78:79]
	;; [unrolled: 1-line block ×5, first 2 shown]
	v_fma_f64 v[52:53], v[98:99], s[34:35], -v[52:53]
	v_fma_f64 v[54:55], v[100:101], s[30:31], v[108:109]
	v_fma_f64 v[56:57], v[98:99], s[6:7], v[66:67]
	;; [unrolled: 1-line block ×3, first 2 shown]
	v_mul_f64 v[74:75], v[102:103], s[24:25]
	v_fma_f64 v[60:61], v[98:99], s[6:7], -v[66:67]
	v_mul_f64 v[66:67], v[106:107], s[26:27]
	v_add_f64 v[50:51], v[62:63], v[104:105]
	v_fma_f64 v[62:63], v[100:101], s[18:19], v[76:77]
	v_add_f64 v[86:87], v[118:119], v[86:87]
	v_add_f64 v[52:53], v[52:53], v[64:65]
	;; [unrolled: 1-line block ×5, first 2 shown]
	v_fma_f64 v[64:65], v[98:99], s[26:27], v[74:75]
	v_fma_f64 v[68:69], v[100:101], s[28:29], v[66:67]
	v_fma_f64 v[70:71], v[98:99], s[26:27], -v[74:75]
	v_fma_f64 v[72:73], v[100:101], s[24:25], v[66:67]
	v_mul_f64 v[74:75], v[102:103], s[14:15]
	v_mul_f64 v[76:77], v[106:107], s[4:5]
	v_add_f64 v[60:61], v[60:61], v[80:81]
	v_add_f64 v[62:63], v[62:63], v[82:83]
	v_mul_f64 v[80:81], v[102:103], s[16:17]
	v_mul_f64 v[82:83], v[106:107], s[20:21]
	v_add_f64 v[94:95], v[120:121], v[94:95]
	v_add_f64 v[96:97], v[122:123], v[96:97]
	;; [unrolled: 1-line block ×6, first 2 shown]
	v_fma_f64 v[72:73], v[98:99], s[4:5], v[74:75]
	v_fma_f64 v[84:85], v[100:101], s[0:1], v[76:77]
	;; [unrolled: 1-line block ×4, first 2 shown]
	v_fma_f64 v[86:87], v[98:99], s[4:5], -v[74:75]
	v_fma_f64 v[98:99], v[98:99], s[20:21], -v[80:81]
	v_fma_f64 v[102:103], v[100:101], s[16:17], v[82:83]
	v_fma_f64 v[100:101], v[100:101], s[14:15], v[76:77]
	v_add_f64 v[72:73], v[72:73], v[94:95]
	v_add_f64 v[74:75], v[84:85], v[96:97]
	;; [unrolled: 1-line block ×8, first 2 shown]
	ds_write_b128 v166, v[44:47]
	ds_write_b128 v166, v[48:51] offset:528
	ds_write_b128 v166, v[56:59] offset:1056
	ds_write_b128 v166, v[64:67] offset:1584
	ds_write_b128 v166, v[72:75] offset:2112
	ds_write_b128 v166, v[80:83] offset:2640
	ds_write_b128 v166, v[84:87] offset:3168
	ds_write_b128 v166, v[76:79] offset:3696
	ds_write_b128 v166, v[68:71] offset:4224
	ds_write_b128 v166, v[60:63] offset:4752
	ds_write_b128 v166, v[52:55] offset:5280
	s_waitcnt lgkmcnt(0)
	s_barrier
	ds_read_b128 v[44:47], v166
	ds_read_b128 v[48:51], v166 offset:528
	v_mad_u64_u32 v[52:53], s[0:1], s10, v164, 0
	s_waitcnt lgkmcnt(1)
	v_mul_f64 v[54:55], v[42:43], v[46:47]
	v_mul_f64 v[42:43], v[42:43], v[44:45]
	v_mad_u64_u32 v[56:57], s[0:1], s11, v164, v[53:54]
	v_mad_u64_u32 v[57:58], s[0:1], s8, v165, 0
	v_fma_f64 v[44:45], v[40:41], v[44:45], v[54:55]
	v_fma_f64 v[42:43], v[40:41], v[46:47], -v[42:43]
	v_mov_b32_e32 v40, v58
	v_mad_u64_u32 v[46:47], s[0:1], s9, v165, v[40:41]
	s_mov_b32 s0, 0x3a88d0c0
	s_mov_b32 s1, 0x3f669147
	v_mov_b32_e32 v58, v46
	s_waitcnt lgkmcnt(0)
	v_mul_f64 v[46:47], v[22:23], v[50:51]
	v_mul_f64 v[22:23], v[22:23], v[48:49]
	v_mov_b32_e32 v53, v56
	v_mul_f64 v[40:41], v[44:45], s[0:1]
	v_mul_f64 v[42:43], v[42:43], s[0:1]
	v_lshlrev_b64 v[44:45], 4, v[52:53]
	v_mov_b32_e32 v52, s3
	v_add_co_u32_e32 v53, vcc, s2, v44
	v_fma_f64 v[46:47], v[20:21], v[48:49], v[46:47]
	v_fma_f64 v[48:49], v[20:21], v[50:51], -v[22:23]
	ds_read_b128 v[20:23], v166 offset:1056
	v_addc_co_u32_e32 v52, vcc, v52, v45, vcc
	v_lshlrev_b64 v[44:45], 4, v[57:58]
	s_mul_i32 s2, s9, 0x210
	v_add_co_u32_e32 v50, vcc, v53, v44
	v_addc_co_u32_e32 v51, vcc, v52, v45, vcc
	global_store_dwordx4 v[50:51], v[40:43], off
	s_mul_hi_u32 s3, s8, 0x210
	v_mul_f64 v[40:41], v[46:47], s[0:1]
	ds_read_b128 v[44:47], v166 offset:1584
	s_waitcnt lgkmcnt(1)
	v_mul_f64 v[52:53], v[34:35], v[22:23]
	v_mul_f64 v[34:35], v[34:35], v[20:21]
	;; [unrolled: 1-line block ×3, first 2 shown]
	s_add_i32 s2, s3, s2
	s_waitcnt lgkmcnt(0)
	v_mul_f64 v[48:49], v[14:15], v[46:47]
	v_mul_f64 v[14:15], v[14:15], v[44:45]
	s_mul_i32 s3, s8, 0x210
	v_mov_b32_e32 v54, s2
	v_fma_f64 v[20:21], v[32:33], v[20:21], v[52:53]
	v_fma_f64 v[22:23], v[32:33], v[22:23], -v[34:35]
	ds_read_b128 v[32:35], v166 offset:2112
	v_add_co_u32_e32 v50, vcc, s3, v50
	v_addc_co_u32_e32 v51, vcc, v51, v54, vcc
	global_store_dwordx4 v[50:51], v[40:43], off
	v_mul_f64 v[20:21], v[20:21], s[0:1]
	v_mul_f64 v[22:23], v[22:23], s[0:1]
	v_fma_f64 v[40:41], v[12:13], v[44:45], v[48:49]
	v_fma_f64 v[42:43], v[12:13], v[46:47], -v[14:15]
	ds_read_b128 v[12:15], v166 offset:2640
	s_waitcnt lgkmcnt(1)
	v_mul_f64 v[44:45], v[38:39], v[34:35]
	v_mul_f64 v[38:39], v[38:39], v[32:33]
	v_mov_b32_e32 v52, s2
	v_add_co_u32_e32 v46, vcc, s3, v50
	v_addc_co_u32_e32 v47, vcc, v51, v52, vcc
	global_store_dwordx4 v[46:47], v[20:23], off
	v_fma_f64 v[32:33], v[36:37], v[32:33], v[44:45]
	v_mul_f64 v[20:21], v[40:41], s[0:1]
	v_mul_f64 v[22:23], v[42:43], s[0:1]
	v_fma_f64 v[34:35], v[36:37], v[34:35], -v[38:39]
	s_waitcnt lgkmcnt(0)
	v_mul_f64 v[36:37], v[10:11], v[14:15]
	v_mul_f64 v[10:11], v[10:11], v[12:13]
	v_mov_b32_e32 v40, s2
	v_add_co_u32_e32 v38, vcc, s3, v46
	v_addc_co_u32_e32 v39, vcc, v47, v40, vcc
	global_store_dwordx4 v[38:39], v[20:23], off
	v_fma_f64 v[12:13], v[8:9], v[12:13], v[36:37]
	v_mul_f64 v[20:21], v[32:33], s[0:1]
	v_mul_f64 v[22:23], v[34:35], s[0:1]
	ds_read_b128 v[32:35], v166 offset:3168
	v_fma_f64 v[14:15], v[8:9], v[14:15], -v[10:11]
	ds_read_b128 v[8:11], v166 offset:3696
	v_add_co_u32_e32 v38, vcc, s3, v38
	s_waitcnt lgkmcnt(1)
	v_mul_f64 v[36:37], v[26:27], v[34:35]
	v_mul_f64 v[26:27], v[26:27], v[32:33]
	v_addc_co_u32_e32 v39, vcc, v39, v40, vcc
	global_store_dwordx4 v[38:39], v[20:23], off
	v_mul_f64 v[12:13], v[12:13], s[0:1]
	v_mul_f64 v[14:15], v[14:15], s[0:1]
	v_fma_f64 v[20:21], v[24:25], v[32:33], v[36:37]
	v_fma_f64 v[22:23], v[24:25], v[34:35], -v[26:27]
	s_waitcnt lgkmcnt(0)
	v_mul_f64 v[24:25], v[6:7], v[10:11]
	v_mul_f64 v[6:7], v[6:7], v[8:9]
	v_add_co_u32_e32 v26, vcc, s3, v38
	v_addc_co_u32_e32 v27, vcc, v39, v40, vcc
	global_store_dwordx4 v[26:27], v[12:15], off
	v_mov_b32_e32 v32, s2
	v_mul_f64 v[12:13], v[20:21], s[0:1]
	v_mul_f64 v[14:15], v[22:23], s[0:1]
	ds_read_b128 v[20:23], v166 offset:4224
	v_fma_f64 v[8:9], v[4:5], v[8:9], v[24:25]
	v_fma_f64 v[10:11], v[4:5], v[10:11], -v[6:7]
	ds_read_b128 v[4:7], v166 offset:4752
	v_add_co_u32_e32 v26, vcc, s3, v26
	s_waitcnt lgkmcnt(1)
	v_mul_f64 v[24:25], v[30:31], v[22:23]
	v_mul_f64 v[30:31], v[30:31], v[20:21]
	v_addc_co_u32_e32 v27, vcc, v27, v32, vcc
	global_store_dwordx4 v[26:27], v[12:15], off
	ds_read_b128 v[12:15], v166 offset:5280
	v_mul_f64 v[8:9], v[8:9], s[0:1]
	v_mul_f64 v[10:11], v[10:11], s[0:1]
	v_fma_f64 v[20:21], v[28:29], v[20:21], v[24:25]
	v_add_co_u32_e32 v24, vcc, s3, v26
	v_addc_co_u32_e32 v25, vcc, v27, v32, vcc
	s_waitcnt lgkmcnt(1)
	v_mul_f64 v[26:27], v[2:3], v[6:7]
	v_mul_f64 v[2:3], v[2:3], v[4:5]
	v_fma_f64 v[22:23], v[28:29], v[22:23], -v[30:31]
	s_waitcnt lgkmcnt(0)
	v_mul_f64 v[28:29], v[18:19], v[14:15]
	v_mul_f64 v[18:19], v[18:19], v[12:13]
	global_store_dwordx4 v[24:25], v[8:11], off
	v_fma_f64 v[4:5], v[0:1], v[4:5], v[26:27]
	v_fma_f64 v[2:3], v[0:1], v[6:7], -v[2:3]
	v_mul_f64 v[8:9], v[20:21], s[0:1]
	v_fma_f64 v[6:7], v[16:17], v[12:13], v[28:29]
	v_fma_f64 v[12:13], v[16:17], v[14:15], -v[18:19]
	v_mul_f64 v[10:11], v[22:23], s[0:1]
	v_mov_b32_e32 v20, s2
	v_add_co_u32_e32 v14, vcc, s3, v24
	v_mul_f64 v[0:1], v[4:5], s[0:1]
	v_mul_f64 v[2:3], v[2:3], s[0:1]
	;; [unrolled: 1-line block ×4, first 2 shown]
	v_addc_co_u32_e32 v15, vcc, v25, v20, vcc
	global_store_dwordx4 v[14:15], v[8:11], off
	s_nop 0
	v_mov_b32_e32 v9, s2
	v_add_co_u32_e32 v8, vcc, s3, v14
	v_addc_co_u32_e32 v9, vcc, v15, v9, vcc
	global_store_dwordx4 v[8:9], v[0:3], off
	s_nop 0
	v_mov_b32_e32 v1, s2
	v_add_co_u32_e32 v0, vcc, s3, v8
	v_addc_co_u32_e32 v1, vcc, v9, v1, vcc
	global_store_dwordx4 v[0:1], v[4:7], off
.LBB0_10:
	s_endpgm
	.section	.rodata,"a",@progbits
	.p2align	6, 0x0
	.amdhsa_kernel bluestein_single_back_len363_dim1_dp_op_CI_CI
		.amdhsa_group_segment_fixed_size 17424
		.amdhsa_private_segment_fixed_size 0
		.amdhsa_kernarg_size 104
		.amdhsa_user_sgpr_count 6
		.amdhsa_user_sgpr_private_segment_buffer 1
		.amdhsa_user_sgpr_dispatch_ptr 0
		.amdhsa_user_sgpr_queue_ptr 0
		.amdhsa_user_sgpr_kernarg_segment_ptr 1
		.amdhsa_user_sgpr_dispatch_id 0
		.amdhsa_user_sgpr_flat_scratch_init 0
		.amdhsa_user_sgpr_private_segment_size 0
		.amdhsa_uses_dynamic_stack 0
		.amdhsa_system_sgpr_private_segment_wavefront_offset 0
		.amdhsa_system_sgpr_workgroup_id_x 1
		.amdhsa_system_sgpr_workgroup_id_y 0
		.amdhsa_system_sgpr_workgroup_id_z 0
		.amdhsa_system_sgpr_workgroup_info 0
		.amdhsa_system_vgpr_workitem_id 0
		.amdhsa_next_free_vgpr 235
		.amdhsa_next_free_sgpr 40
		.amdhsa_reserve_vcc 1
		.amdhsa_reserve_flat_scratch 0
		.amdhsa_float_round_mode_32 0
		.amdhsa_float_round_mode_16_64 0
		.amdhsa_float_denorm_mode_32 3
		.amdhsa_float_denorm_mode_16_64 3
		.amdhsa_dx10_clamp 1
		.amdhsa_ieee_mode 1
		.amdhsa_fp16_overflow 0
		.amdhsa_exception_fp_ieee_invalid_op 0
		.amdhsa_exception_fp_denorm_src 0
		.amdhsa_exception_fp_ieee_div_zero 0
		.amdhsa_exception_fp_ieee_overflow 0
		.amdhsa_exception_fp_ieee_underflow 0
		.amdhsa_exception_fp_ieee_inexact 0
		.amdhsa_exception_int_div_zero 0
	.end_amdhsa_kernel
	.text
.Lfunc_end0:
	.size	bluestein_single_back_len363_dim1_dp_op_CI_CI, .Lfunc_end0-bluestein_single_back_len363_dim1_dp_op_CI_CI
                                        ; -- End function
	.section	.AMDGPU.csdata,"",@progbits
; Kernel info:
; codeLenInByte = 16728
; NumSgprs: 44
; NumVgprs: 235
; ScratchSize: 0
; MemoryBound: 0
; FloatMode: 240
; IeeeMode: 1
; LDSByteSize: 17424 bytes/workgroup (compile time only)
; SGPRBlocks: 5
; VGPRBlocks: 58
; NumSGPRsForWavesPerEU: 44
; NumVGPRsForWavesPerEU: 235
; Occupancy: 1
; WaveLimiterHint : 1
; COMPUTE_PGM_RSRC2:SCRATCH_EN: 0
; COMPUTE_PGM_RSRC2:USER_SGPR: 6
; COMPUTE_PGM_RSRC2:TRAP_HANDLER: 0
; COMPUTE_PGM_RSRC2:TGID_X_EN: 1
; COMPUTE_PGM_RSRC2:TGID_Y_EN: 0
; COMPUTE_PGM_RSRC2:TGID_Z_EN: 0
; COMPUTE_PGM_RSRC2:TIDIG_COMP_CNT: 0
	.type	__hip_cuid_250465a6488c015,@object ; @__hip_cuid_250465a6488c015
	.section	.bss,"aw",@nobits
	.globl	__hip_cuid_250465a6488c015
__hip_cuid_250465a6488c015:
	.byte	0                               ; 0x0
	.size	__hip_cuid_250465a6488c015, 1

	.ident	"AMD clang version 19.0.0git (https://github.com/RadeonOpenCompute/llvm-project roc-6.4.0 25133 c7fe45cf4b819c5991fe208aaa96edf142730f1d)"
	.section	".note.GNU-stack","",@progbits
	.addrsig
	.addrsig_sym __hip_cuid_250465a6488c015
	.amdgpu_metadata
---
amdhsa.kernels:
  - .args:
      - .actual_access:  read_only
        .address_space:  global
        .offset:         0
        .size:           8
        .value_kind:     global_buffer
      - .actual_access:  read_only
        .address_space:  global
        .offset:         8
        .size:           8
        .value_kind:     global_buffer
      - .actual_access:  read_only
        .address_space:  global
        .offset:         16
        .size:           8
        .value_kind:     global_buffer
      - .actual_access:  read_only
        .address_space:  global
        .offset:         24
        .size:           8
        .value_kind:     global_buffer
      - .actual_access:  read_only
        .address_space:  global
        .offset:         32
        .size:           8
        .value_kind:     global_buffer
      - .offset:         40
        .size:           8
        .value_kind:     by_value
      - .address_space:  global
        .offset:         48
        .size:           8
        .value_kind:     global_buffer
      - .address_space:  global
        .offset:         56
        .size:           8
        .value_kind:     global_buffer
      - .address_space:  global
        .offset:         64
        .size:           8
        .value_kind:     global_buffer
      - .address_space:  global
        .offset:         72
        .size:           8
        .value_kind:     global_buffer
      - .offset:         80
        .size:           4
        .value_kind:     by_value
      - .address_space:  global
        .offset:         88
        .size:           8
        .value_kind:     global_buffer
      - .address_space:  global
        .offset:         96
        .size:           8
        .value_kind:     global_buffer
    .group_segment_fixed_size: 17424
    .kernarg_segment_align: 8
    .kernarg_segment_size: 104
    .language:       OpenCL C
    .language_version:
      - 2
      - 0
    .max_flat_workgroup_size: 99
    .name:           bluestein_single_back_len363_dim1_dp_op_CI_CI
    .private_segment_fixed_size: 0
    .sgpr_count:     44
    .sgpr_spill_count: 0
    .symbol:         bluestein_single_back_len363_dim1_dp_op_CI_CI.kd
    .uniform_work_group_size: 1
    .uses_dynamic_stack: false
    .vgpr_count:     235
    .vgpr_spill_count: 0
    .wavefront_size: 64
amdhsa.target:   amdgcn-amd-amdhsa--gfx906
amdhsa.version:
  - 1
  - 2
...

	.end_amdgpu_metadata
